;; amdgpu-corpus repo=ROCm/rocFFT kind=compiled arch=gfx1201 opt=O3
	.text
	.amdgcn_target "amdgcn-amd-amdhsa--gfx1201"
	.amdhsa_code_object_version 6
	.protected	fft_rtc_fwd_len3456_factors_6_6_6_4_4_wgs_144_tpt_144_halfLds_half_ip_CI_unitstride_sbrr_C2R_dirReg ; -- Begin function fft_rtc_fwd_len3456_factors_6_6_6_4_4_wgs_144_tpt_144_halfLds_half_ip_CI_unitstride_sbrr_C2R_dirReg
	.globl	fft_rtc_fwd_len3456_factors_6_6_6_4_4_wgs_144_tpt_144_halfLds_half_ip_CI_unitstride_sbrr_C2R_dirReg
	.p2align	8
	.type	fft_rtc_fwd_len3456_factors_6_6_6_4_4_wgs_144_tpt_144_halfLds_half_ip_CI_unitstride_sbrr_C2R_dirReg,@function
fft_rtc_fwd_len3456_factors_6_6_6_4_4_wgs_144_tpt_144_halfLds_half_ip_CI_unitstride_sbrr_C2R_dirReg: ; @fft_rtc_fwd_len3456_factors_6_6_6_4_4_wgs_144_tpt_144_halfLds_half_ip_CI_unitstride_sbrr_C2R_dirReg
; %bb.0:
	s_clause 0x2
	s_load_b128 s[4:7], s[0:1], 0x0
	s_load_b64 s[8:9], s[0:1], 0x50
	s_load_b64 s[10:11], s[0:1], 0x18
	v_mul_u32_u24_e32 v1, 0x1c8, v0
	v_mov_b32_e32 v3, 0
	s_delay_alu instid0(VALU_DEP_2) | instskip(NEXT) | instid1(VALU_DEP_1)
	v_lshrrev_b32_e32 v1, 16, v1
	v_add_nc_u32_e32 v5, ttmp9, v1
	v_mov_b32_e32 v1, 0
	v_mov_b32_e32 v2, 0
	;; [unrolled: 1-line block ×3, first 2 shown]
	s_wait_kmcnt 0x0
	v_cmp_lt_u64_e64 s2, s[6:7], 2
	s_delay_alu instid0(VALU_DEP_1)
	s_and_b32 vcc_lo, exec_lo, s2
	s_cbranch_vccnz .LBB0_8
; %bb.1:
	s_load_b64 s[2:3], s[0:1], 0x10
	v_mov_b32_e32 v1, 0
	v_mov_b32_e32 v2, 0
	s_add_nc_u64 s[12:13], s[10:11], 8
	s_mov_b64 s[14:15], 1
	s_wait_kmcnt 0x0
	s_add_nc_u64 s[16:17], s[2:3], 8
	s_mov_b32 s3, 0
.LBB0_2:                                ; =>This Inner Loop Header: Depth=1
	s_load_b64 s[18:19], s[16:17], 0x0
                                        ; implicit-def: $vgpr7_vgpr8
	s_mov_b32 s2, exec_lo
	s_wait_kmcnt 0x0
	v_or_b32_e32 v4, s19, v6
	s_delay_alu instid0(VALU_DEP_1)
	v_cmpx_ne_u64_e32 0, v[3:4]
	s_wait_alu 0xfffe
	s_xor_b32 s20, exec_lo, s2
	s_cbranch_execz .LBB0_4
; %bb.3:                                ;   in Loop: Header=BB0_2 Depth=1
	s_cvt_f32_u32 s2, s18
	s_cvt_f32_u32 s21, s19
	s_sub_nc_u64 s[24:25], 0, s[18:19]
	s_wait_alu 0xfffe
	s_delay_alu instid0(SALU_CYCLE_1) | instskip(SKIP_1) | instid1(SALU_CYCLE_2)
	s_fmamk_f32 s2, s21, 0x4f800000, s2
	s_wait_alu 0xfffe
	v_s_rcp_f32 s2, s2
	s_delay_alu instid0(TRANS32_DEP_1) | instskip(SKIP_1) | instid1(SALU_CYCLE_2)
	s_mul_f32 s2, s2, 0x5f7ffffc
	s_wait_alu 0xfffe
	s_mul_f32 s21, s2, 0x2f800000
	s_wait_alu 0xfffe
	s_delay_alu instid0(SALU_CYCLE_2) | instskip(SKIP_1) | instid1(SALU_CYCLE_2)
	s_trunc_f32 s21, s21
	s_wait_alu 0xfffe
	s_fmamk_f32 s2, s21, 0xcf800000, s2
	s_cvt_u32_f32 s23, s21
	s_wait_alu 0xfffe
	s_delay_alu instid0(SALU_CYCLE_1) | instskip(SKIP_1) | instid1(SALU_CYCLE_2)
	s_cvt_u32_f32 s22, s2
	s_wait_alu 0xfffe
	s_mul_u64 s[26:27], s[24:25], s[22:23]
	s_wait_alu 0xfffe
	s_mul_hi_u32 s29, s22, s27
	s_mul_i32 s28, s22, s27
	s_mul_hi_u32 s2, s22, s26
	s_mul_i32 s30, s23, s26
	s_wait_alu 0xfffe
	s_add_nc_u64 s[28:29], s[2:3], s[28:29]
	s_mul_hi_u32 s21, s23, s26
	s_mul_hi_u32 s31, s23, s27
	s_add_co_u32 s2, s28, s30
	s_wait_alu 0xfffe
	s_add_co_ci_u32 s2, s29, s21
	s_mul_i32 s26, s23, s27
	s_add_co_ci_u32 s27, s31, 0
	s_wait_alu 0xfffe
	s_add_nc_u64 s[26:27], s[2:3], s[26:27]
	s_wait_alu 0xfffe
	v_add_co_u32 v4, s2, s22, s26
	s_delay_alu instid0(VALU_DEP_1) | instskip(SKIP_1) | instid1(VALU_DEP_1)
	s_cmp_lg_u32 s2, 0
	s_add_co_ci_u32 s23, s23, s27
	v_readfirstlane_b32 s22, v4
	s_wait_alu 0xfffe
	s_delay_alu instid0(VALU_DEP_1)
	s_mul_u64 s[24:25], s[24:25], s[22:23]
	s_wait_alu 0xfffe
	s_mul_hi_u32 s27, s22, s25
	s_mul_i32 s26, s22, s25
	s_mul_hi_u32 s2, s22, s24
	s_mul_i32 s28, s23, s24
	s_wait_alu 0xfffe
	s_add_nc_u64 s[26:27], s[2:3], s[26:27]
	s_mul_hi_u32 s21, s23, s24
	s_mul_hi_u32 s22, s23, s25
	s_wait_alu 0xfffe
	s_add_co_u32 s2, s26, s28
	s_add_co_ci_u32 s2, s27, s21
	s_mul_i32 s24, s23, s25
	s_add_co_ci_u32 s25, s22, 0
	s_wait_alu 0xfffe
	s_add_nc_u64 s[24:25], s[2:3], s[24:25]
	s_wait_alu 0xfffe
	v_add_co_u32 v4, s2, v4, s24
	s_delay_alu instid0(VALU_DEP_1) | instskip(SKIP_1) | instid1(VALU_DEP_1)
	s_cmp_lg_u32 s2, 0
	s_add_co_ci_u32 s2, s23, s25
	v_mul_hi_u32 v13, v5, v4
	s_wait_alu 0xfffe
	v_mad_co_u64_u32 v[7:8], null, v5, s2, 0
	v_mad_co_u64_u32 v[9:10], null, v6, v4, 0
	;; [unrolled: 1-line block ×3, first 2 shown]
	s_delay_alu instid0(VALU_DEP_3) | instskip(SKIP_1) | instid1(VALU_DEP_4)
	v_add_co_u32 v4, vcc_lo, v13, v7
	s_wait_alu 0xfffd
	v_add_co_ci_u32_e32 v7, vcc_lo, 0, v8, vcc_lo
	s_delay_alu instid0(VALU_DEP_2) | instskip(SKIP_1) | instid1(VALU_DEP_2)
	v_add_co_u32 v4, vcc_lo, v4, v9
	s_wait_alu 0xfffd
	v_add_co_ci_u32_e32 v4, vcc_lo, v7, v10, vcc_lo
	s_wait_alu 0xfffd
	v_add_co_ci_u32_e32 v7, vcc_lo, 0, v12, vcc_lo
	s_delay_alu instid0(VALU_DEP_2) | instskip(SKIP_1) | instid1(VALU_DEP_2)
	v_add_co_u32 v4, vcc_lo, v4, v11
	s_wait_alu 0xfffd
	v_add_co_ci_u32_e32 v9, vcc_lo, 0, v7, vcc_lo
	s_delay_alu instid0(VALU_DEP_2) | instskip(SKIP_1) | instid1(VALU_DEP_3)
	v_mul_lo_u32 v10, s19, v4
	v_mad_co_u64_u32 v[7:8], null, s18, v4, 0
	v_mul_lo_u32 v11, s18, v9
	s_delay_alu instid0(VALU_DEP_2) | instskip(NEXT) | instid1(VALU_DEP_2)
	v_sub_co_u32 v7, vcc_lo, v5, v7
	v_add3_u32 v8, v8, v11, v10
	s_delay_alu instid0(VALU_DEP_1) | instskip(SKIP_1) | instid1(VALU_DEP_1)
	v_sub_nc_u32_e32 v10, v6, v8
	s_wait_alu 0xfffd
	v_subrev_co_ci_u32_e64 v10, s2, s19, v10, vcc_lo
	v_add_co_u32 v11, s2, v4, 2
	s_wait_alu 0xf1ff
	v_add_co_ci_u32_e64 v12, s2, 0, v9, s2
	v_sub_co_u32 v13, s2, v7, s18
	v_sub_co_ci_u32_e32 v8, vcc_lo, v6, v8, vcc_lo
	s_wait_alu 0xf1ff
	v_subrev_co_ci_u32_e64 v10, s2, 0, v10, s2
	s_delay_alu instid0(VALU_DEP_3) | instskip(NEXT) | instid1(VALU_DEP_3)
	v_cmp_le_u32_e32 vcc_lo, s18, v13
	v_cmp_eq_u32_e64 s2, s19, v8
	s_wait_alu 0xfffd
	v_cndmask_b32_e64 v13, 0, -1, vcc_lo
	v_cmp_le_u32_e32 vcc_lo, s19, v10
	s_wait_alu 0xfffd
	v_cndmask_b32_e64 v14, 0, -1, vcc_lo
	v_cmp_le_u32_e32 vcc_lo, s18, v7
	;; [unrolled: 3-line block ×3, first 2 shown]
	s_wait_alu 0xfffd
	v_cndmask_b32_e64 v15, 0, -1, vcc_lo
	v_cmp_eq_u32_e32 vcc_lo, s19, v10
	s_wait_alu 0xf1ff
	s_delay_alu instid0(VALU_DEP_2)
	v_cndmask_b32_e64 v7, v15, v7, s2
	s_wait_alu 0xfffd
	v_cndmask_b32_e32 v10, v14, v13, vcc_lo
	v_add_co_u32 v13, vcc_lo, v4, 1
	s_wait_alu 0xfffd
	v_add_co_ci_u32_e32 v14, vcc_lo, 0, v9, vcc_lo
	s_delay_alu instid0(VALU_DEP_3) | instskip(SKIP_2) | instid1(VALU_DEP_3)
	v_cmp_ne_u32_e32 vcc_lo, 0, v10
	s_wait_alu 0xfffd
	v_cndmask_b32_e32 v10, v13, v11, vcc_lo
	v_cndmask_b32_e32 v8, v14, v12, vcc_lo
	v_cmp_ne_u32_e32 vcc_lo, 0, v7
	s_wait_alu 0xfffd
	s_delay_alu instid0(VALU_DEP_2)
	v_dual_cndmask_b32 v7, v4, v10 :: v_dual_cndmask_b32 v8, v9, v8
.LBB0_4:                                ;   in Loop: Header=BB0_2 Depth=1
	s_wait_alu 0xfffe
	s_and_not1_saveexec_b32 s2, s20
	s_cbranch_execz .LBB0_6
; %bb.5:                                ;   in Loop: Header=BB0_2 Depth=1
	v_cvt_f32_u32_e32 v4, s18
	s_sub_co_i32 s20, 0, s18
	s_delay_alu instid0(VALU_DEP_1) | instskip(NEXT) | instid1(TRANS32_DEP_1)
	v_rcp_iflag_f32_e32 v4, v4
	v_mul_f32_e32 v4, 0x4f7ffffe, v4
	s_delay_alu instid0(VALU_DEP_1) | instskip(SKIP_1) | instid1(VALU_DEP_1)
	v_cvt_u32_f32_e32 v4, v4
	s_wait_alu 0xfffe
	v_mul_lo_u32 v7, s20, v4
	s_delay_alu instid0(VALU_DEP_1) | instskip(NEXT) | instid1(VALU_DEP_1)
	v_mul_hi_u32 v7, v4, v7
	v_add_nc_u32_e32 v4, v4, v7
	s_delay_alu instid0(VALU_DEP_1) | instskip(NEXT) | instid1(VALU_DEP_1)
	v_mul_hi_u32 v4, v5, v4
	v_mul_lo_u32 v7, v4, s18
	v_add_nc_u32_e32 v8, 1, v4
	s_delay_alu instid0(VALU_DEP_2) | instskip(NEXT) | instid1(VALU_DEP_1)
	v_sub_nc_u32_e32 v7, v5, v7
	v_subrev_nc_u32_e32 v9, s18, v7
	v_cmp_le_u32_e32 vcc_lo, s18, v7
	s_wait_alu 0xfffd
	s_delay_alu instid0(VALU_DEP_2) | instskip(NEXT) | instid1(VALU_DEP_1)
	v_dual_cndmask_b32 v7, v7, v9 :: v_dual_cndmask_b32 v4, v4, v8
	v_cmp_le_u32_e32 vcc_lo, s18, v7
	s_delay_alu instid0(VALU_DEP_2) | instskip(SKIP_1) | instid1(VALU_DEP_1)
	v_add_nc_u32_e32 v8, 1, v4
	s_wait_alu 0xfffd
	v_dual_cndmask_b32 v7, v4, v8 :: v_dual_mov_b32 v8, v3
.LBB0_6:                                ;   in Loop: Header=BB0_2 Depth=1
	s_wait_alu 0xfffe
	s_or_b32 exec_lo, exec_lo, s2
	s_load_b64 s[20:21], s[12:13], 0x0
	s_delay_alu instid0(VALU_DEP_1)
	v_mul_lo_u32 v4, v8, s18
	v_mul_lo_u32 v11, v7, s19
	v_mad_co_u64_u32 v[9:10], null, v7, s18, 0
	s_add_nc_u64 s[14:15], s[14:15], 1
	s_add_nc_u64 s[12:13], s[12:13], 8
	s_wait_alu 0xfffe
	v_cmp_ge_u64_e64 s2, s[14:15], s[6:7]
	s_add_nc_u64 s[16:17], s[16:17], 8
	s_delay_alu instid0(VALU_DEP_2) | instskip(NEXT) | instid1(VALU_DEP_3)
	v_add3_u32 v4, v10, v11, v4
	v_sub_co_u32 v5, vcc_lo, v5, v9
	s_wait_alu 0xfffd
	s_delay_alu instid0(VALU_DEP_2) | instskip(SKIP_3) | instid1(VALU_DEP_2)
	v_sub_co_ci_u32_e32 v4, vcc_lo, v6, v4, vcc_lo
	s_and_b32 vcc_lo, exec_lo, s2
	s_wait_kmcnt 0x0
	v_mul_lo_u32 v6, s21, v5
	v_mul_lo_u32 v4, s20, v4
	v_mad_co_u64_u32 v[1:2], null, s20, v5, v[1:2]
	s_delay_alu instid0(VALU_DEP_1)
	v_add3_u32 v2, v6, v2, v4
	s_wait_alu 0xfffe
	s_cbranch_vccnz .LBB0_9
; %bb.7:                                ;   in Loop: Header=BB0_2 Depth=1
	v_dual_mov_b32 v5, v7 :: v_dual_mov_b32 v6, v8
	s_branch .LBB0_2
.LBB0_8:
	v_dual_mov_b32 v8, v6 :: v_dual_mov_b32 v7, v5
.LBB0_9:
	s_lshl_b64 s[2:3], s[6:7], 3
	v_mul_hi_u32 v5, 0x1c71c72, v0
	s_wait_alu 0xfffe
	s_add_nc_u64 s[2:3], s[10:11], s[2:3]
	s_load_b64 s[2:3], s[2:3], 0x0
	s_load_b64 s[0:1], s[0:1], 0x20
	s_wait_kmcnt 0x0
	v_mul_lo_u32 v3, s2, v8
	v_mul_lo_u32 v4, s3, v7
	v_mad_co_u64_u32 v[1:2], null, s2, v7, v[1:2]
	v_cmp_gt_u64_e32 vcc_lo, s[0:1], v[7:8]
	s_delay_alu instid0(VALU_DEP_2) | instskip(SKIP_1) | instid1(VALU_DEP_2)
	v_add3_u32 v2, v4, v2, v3
	v_mul_u32_u24_e32 v3, 0x90, v5
	v_lshlrev_b64_e32 v[18:19], 2, v[1:2]
	s_delay_alu instid0(VALU_DEP_2)
	v_sub_nc_u32_e32 v16, v0, v3
	s_and_saveexec_b32 s1, vcc_lo
	s_cbranch_execz .LBB0_13
; %bb.10:
	v_mov_b32_e32 v17, 0
	s_delay_alu instid0(VALU_DEP_3) | instskip(SKIP_2) | instid1(VALU_DEP_3)
	v_add_co_u32 v0, s0, s8, v18
	s_wait_alu 0xf1ff
	v_add_co_ci_u32_e64 v1, s0, s9, v19, s0
	v_lshlrev_b64_e32 v[2:3], 2, v[16:17]
	s_delay_alu instid0(VALU_DEP_1) | instskip(SKIP_1) | instid1(VALU_DEP_2)
	v_add_co_u32 v2, s0, v0, v2
	s_wait_alu 0xf1ff
	v_add_co_ci_u32_e64 v3, s0, v1, v3, s0
	v_cmp_eq_u32_e64 s0, 0x8f, v16
	s_clause 0x17
	global_load_b32 v4, v[2:3], off
	global_load_b32 v5, v[2:3], off offset:576
	global_load_b32 v6, v[2:3], off offset:1152
	;; [unrolled: 1-line block ×23, first 2 shown]
	v_lshl_add_u32 v3, v16, 2, 0
	s_delay_alu instid0(VALU_DEP_1)
	v_add_nc_u32_e32 v32, 0x800, v3
	v_add_nc_u32_e32 v31, 0x400, v3
	;; [unrolled: 1-line block ×11, first 2 shown]
	s_wait_loadcnt 0x16
	ds_store_2addr_b32 v3, v4, v5 offset1:144
	s_wait_loadcnt 0x14
	ds_store_2addr_b32 v31, v6, v7 offset0:32 offset1:176
	s_wait_loadcnt 0x12
	ds_store_2addr_b32 v32, v8, v9 offset0:64 offset1:208
	s_wait_loadcnt 0x10
	ds_store_2addr_b32 v33, v10, v11 offset0:96 offset1:240
	s_wait_loadcnt 0xe
	ds_store_2addr_b32 v34, v12, v13 offset1:144
	s_wait_loadcnt 0xc
	ds_store_2addr_b32 v35, v14, v15 offset0:32 offset1:176
	s_wait_loadcnt 0xa
	ds_store_2addr_b32 v36, v20, v21 offset0:64 offset1:208
	s_wait_loadcnt 0x8
	ds_store_2addr_b32 v37, v22, v23 offset0:96 offset1:240
	;; [unrolled: 8-line block ×3, first 2 shown]
	s_and_saveexec_b32 s2, s0
	s_cbranch_execz .LBB0_12
; %bb.11:
	global_load_b32 v0, v[0:1], off offset:13824
	v_mov_b32_e32 v16, 0x8f
	s_wait_loadcnt 0x0
	ds_store_b32 v17, v0 offset:13824
.LBB0_12:
	s_wait_alu 0xfffe
	s_or_b32 exec_lo, exec_lo, s2
.LBB0_13:
	s_wait_alu 0xfffe
	s_or_b32 exec_lo, exec_lo, s1
	v_lshlrev_b32_e32 v0, 2, v16
	global_wb scope:SCOPE_SE
	s_wait_dscnt 0x0
	s_barrier_signal -1
	s_barrier_wait -1
	global_inv scope:SCOPE_SE
	v_add_nc_u32_e32 v22, 0, v0
	v_sub_nc_u32_e32 v2, 0, v0
	s_mov_b32 s1, exec_lo
                                        ; implicit-def: $vgpr0_vgpr1
	ds_load_u16 v5, v22
	ds_load_u16 v6, v2 offset:13824
	s_wait_dscnt 0x0
	v_add_f16_e32 v4, v6, v5
	v_sub_f16_e32 v3, v5, v6
	v_cmpx_ne_u32_e32 0, v16
	s_wait_alu 0xfffe
	s_xor_b32 s1, exec_lo, s1
	s_cbranch_execz .LBB0_15
; %bb.14:
	v_mov_b32_e32 v17, 0
	v_add_f16_e32 v4, v6, v5
	v_sub_f16_e32 v5, v5, v6
	s_delay_alu instid0(VALU_DEP_3) | instskip(NEXT) | instid1(VALU_DEP_1)
	v_lshlrev_b64_e32 v[0:1], 2, v[16:17]
	v_add_co_u32 v0, s0, s4, v0
	s_wait_alu 0xf1ff
	s_delay_alu instid0(VALU_DEP_2)
	v_add_co_ci_u32_e64 v1, s0, s5, v1, s0
	global_load_b32 v0, v[0:1], off offset:13800
	ds_load_u16 v1, v2 offset:13826
	ds_load_u16 v3, v22 offset:2
	s_wait_dscnt 0x0
	v_add_f16_e32 v6, v1, v3
	v_sub_f16_e32 v1, v3, v1
	s_wait_loadcnt 0x0
	v_lshrrev_b32_e32 v7, 16, v0
	s_delay_alu instid0(VALU_DEP_1) | instskip(NEXT) | instid1(VALU_DEP_3)
	v_fma_f16 v8, -v5, v7, v4
	v_fma_f16 v9, v6, v7, -v1
	v_fma_f16 v3, v6, v7, v1
	v_fma_f16 v4, v5, v7, v4
	s_delay_alu instid0(VALU_DEP_4) | instskip(NEXT) | instid1(VALU_DEP_4)
	v_fmac_f16_e32 v8, v0, v6
	v_fmac_f16_e32 v9, v5, v0
	s_delay_alu instid0(VALU_DEP_4) | instskip(NEXT) | instid1(VALU_DEP_4)
	v_fmac_f16_e32 v3, v5, v0
	v_fma_f16 v4, -v0, v6, v4
	v_dual_mov_b32 v0, v16 :: v_dual_mov_b32 v1, v17
	s_delay_alu instid0(VALU_DEP_4)
	v_pack_b32_f16 v5, v8, v9
	ds_store_b32 v2, v5 offset:13824
.LBB0_15:
	s_wait_alu 0xfffe
	s_and_not1_saveexec_b32 s0, s1
	s_cbranch_execz .LBB0_17
; %bb.16:
	v_mov_b32_e32 v5, 0
	ds_load_b32 v0, v5 offset:6912
	s_wait_dscnt 0x0
	v_pk_mul_f16 v6, 0xc0004000, v0
	v_mov_b32_e32 v0, 0
	v_mov_b32_e32 v1, 0
	ds_store_b32 v5, v6 offset:6912
.LBB0_17:
	s_wait_alu 0xfffe
	s_or_b32 exec_lo, exec_lo, s0
	v_lshlrev_b64_e32 v[0:1], 2, v[0:1]
	s_add_nc_u64 s[0:1], s[4:5], 0x35e8
	v_perm_b32 v3, v3, v4, 0x5040100
	v_and_b32_e32 v21, 0xff, v16
	v_add_nc_u32_e32 v33, 0x90, v16
	v_add_nc_u32_e32 v26, 0x2c00, v22
	s_wait_alu 0xfffe
	v_add_co_u32 v0, s0, s0, v0
	s_wait_alu 0xf1ff
	v_add_co_ci_u32_e64 v1, s0, s1, v1, s0
	v_and_b32_e32 v36, 0xffff, v33
	v_add_nc_u32_e32 v24, 0x1200, v22
	v_add_nc_u32_e32 v25, 0x1a00, v22
	s_clause 0x5
	global_load_b32 v5, v[0:1], off offset:576
	global_load_b32 v6, v[0:1], off offset:1152
	;; [unrolled: 1-line block ×6, first 2 shown]
	ds_store_b32 v22, v3
	global_load_b32 v3, v[0:1], off offset:4032
	ds_load_b32 v4, v22 offset:576
	ds_load_b32 v11, v2 offset:13248
	global_load_b32 v14, v[0:1], off offset:4608
	v_add_nc_u32_e32 v27, 0x400, v22
	v_add_nc_u32_e32 v23, 0x2400, v22
	v_add_nc_u32_e32 v29, 0xc00, v22
	v_add_nc_u32_e32 v28, 0x1600, v22
	v_add_nc_u32_e32 v30, 0x1e00, v22
	v_add_nc_u32_e32 v32, 0x2800, v22
	v_add_nc_u32_e32 v31, 0x3000, v22
	v_cmp_gt_u32_e64 s0, 0x48, v16
	s_wait_dscnt 0x1
	v_lshrrev_b32_e32 v12, 16, v4
	s_wait_dscnt 0x0
	v_lshrrev_b32_e32 v13, 16, v11
	v_add_f16_e32 v15, v4, v11
	v_sub_f16_e32 v4, v4, v11
	s_delay_alu instid0(VALU_DEP_3) | instskip(SKIP_3) | instid1(VALU_DEP_1)
	v_add_f16_e32 v11, v13, v12
	v_sub_f16_e32 v12, v12, v13
	s_wait_loadcnt 0x7
	v_lshrrev_b32_e32 v17, 16, v5
	v_fma_f16 v13, v4, v17, v15
	s_delay_alu instid0(VALU_DEP_3) | instskip(SKIP_2) | instid1(VALU_DEP_4)
	v_fma_f16 v20, v11, v17, v12
	v_fma_f16 v15, -v4, v17, v15
	v_fma_f16 v12, v11, v17, -v12
	v_fma_f16 v13, -v5, v11, v13
	s_delay_alu instid0(VALU_DEP_4) | instskip(NEXT) | instid1(VALU_DEP_4)
	v_fmac_f16_e32 v20, v4, v5
	v_fmac_f16_e32 v15, v5, v11
	s_delay_alu instid0(VALU_DEP_4) | instskip(NEXT) | instid1(VALU_DEP_3)
	v_fmac_f16_e32 v12, v4, v5
	v_pack_b32_f16 v4, v13, v20
	s_wait_loadcnt 0x6
	v_lshrrev_b32_e32 v13, 16, v6
	s_delay_alu instid0(VALU_DEP_3)
	v_pack_b32_f16 v5, v15, v12
	ds_store_b32 v22, v4 offset:576
	ds_store_b32 v2, v5 offset:13248
	ds_load_b32 v4, v22 offset:1152
	ds_load_b32 v5, v2 offset:12672
	s_wait_dscnt 0x1
	v_lshrrev_b32_e32 v11, 16, v4
	s_wait_dscnt 0x0
	v_lshrrev_b32_e32 v12, 16, v5
	v_add_f16_e32 v15, v4, v5
	v_sub_f16_e32 v4, v4, v5
	s_delay_alu instid0(VALU_DEP_3) | instskip(SKIP_1) | instid1(VALU_DEP_3)
	v_add_f16_e32 v5, v12, v11
	v_sub_f16_e32 v11, v11, v12
	v_fma_f16 v12, v4, v13, v15
	v_fma_f16 v15, -v4, v13, v15
	s_delay_alu instid0(VALU_DEP_3) | instskip(SKIP_1) | instid1(VALU_DEP_4)
	v_fma_f16 v17, v5, v13, v11
	v_fma_f16 v11, v5, v13, -v11
	v_fma_f16 v12, -v6, v5, v12
	s_delay_alu instid0(VALU_DEP_4)
	v_fmac_f16_e32 v15, v6, v5
	s_wait_loadcnt 0x5
	v_lshrrev_b32_e32 v13, 16, v7
	v_fmac_f16_e32 v17, v4, v6
	v_fmac_f16_e32 v11, v4, v6
	global_load_b32 v6, v[0:1], off offset:5184
	v_pack_b32_f16 v4, v12, v17
	v_pack_b32_f16 v5, v15, v11
	ds_store_b32 v22, v4 offset:1152
	ds_store_b32 v2, v5 offset:12672
	ds_load_b32 v4, v22 offset:1728
	ds_load_b32 v5, v2 offset:12096
	s_wait_dscnt 0x1
	v_lshrrev_b32_e32 v11, 16, v4
	s_wait_dscnt 0x0
	v_lshrrev_b32_e32 v12, 16, v5
	v_add_f16_e32 v15, v4, v5
	v_sub_f16_e32 v4, v4, v5
	s_delay_alu instid0(VALU_DEP_3) | instskip(SKIP_1) | instid1(VALU_DEP_3)
	v_add_f16_e32 v5, v12, v11
	v_sub_f16_e32 v11, v11, v12
	v_fma_f16 v12, v4, v13, v15
	v_fma_f16 v15, -v4, v13, v15
	s_delay_alu instid0(VALU_DEP_3) | instskip(SKIP_1) | instid1(VALU_DEP_4)
	v_fma_f16 v17, v5, v13, v11
	v_fma_f16 v11, v5, v13, -v11
	v_fma_f16 v12, -v7, v5, v12
	s_delay_alu instid0(VALU_DEP_4)
	v_fmac_f16_e32 v15, v7, v5
	s_wait_loadcnt 0x5
	v_lshrrev_b32_e32 v13, 16, v8
	v_fmac_f16_e32 v17, v4, v7
	v_fmac_f16_e32 v11, v4, v7
	global_load_b32 v7, v[0:1], off offset:5760
	v_pack_b32_f16 v4, v12, v17
	v_pack_b32_f16 v5, v15, v11
	ds_store_b32 v22, v4 offset:1728
	ds_store_b32 v2, v5 offset:12096
	ds_load_b32 v4, v22 offset:2304
	ds_load_b32 v5, v2 offset:11520
	global_load_b32 v0, v[0:1], off offset:6336
	s_wait_dscnt 0x1
	v_lshrrev_b32_e32 v11, 16, v4
	s_wait_dscnt 0x0
	v_lshrrev_b32_e32 v12, 16, v5
	v_add_f16_e32 v15, v4, v5
	v_sub_f16_e32 v4, v4, v5
	s_delay_alu instid0(VALU_DEP_3) | instskip(SKIP_1) | instid1(VALU_DEP_3)
	v_add_f16_e32 v5, v12, v11
	v_sub_f16_e32 v11, v11, v12
	v_fma_f16 v12, v4, v13, v15
	v_fma_f16 v15, -v4, v13, v15
	s_delay_alu instid0(VALU_DEP_3) | instskip(SKIP_1) | instid1(VALU_DEP_4)
	v_fma_f16 v17, v5, v13, v11
	v_fma_f16 v11, v5, v13, -v11
	v_fma_f16 v12, -v8, v5, v12
	s_delay_alu instid0(VALU_DEP_4) | instskip(NEXT) | instid1(VALU_DEP_4)
	v_fmac_f16_e32 v15, v8, v5
	v_fmac_f16_e32 v17, v4, v8
	s_delay_alu instid0(VALU_DEP_4) | instskip(NEXT) | instid1(VALU_DEP_2)
	v_fmac_f16_e32 v11, v4, v8
	v_pack_b32_f16 v4, v12, v17
	s_delay_alu instid0(VALU_DEP_2)
	v_pack_b32_f16 v5, v15, v11
	ds_store_b32 v22, v4 offset:2304
	ds_store_b32 v2, v5 offset:11520
	ds_load_b32 v1, v22 offset:2880
	ds_load_b32 v4, v2 offset:10944
	s_wait_loadcnt 0x6
	v_lshrrev_b32_e32 v11, 16, v9
	v_add_nc_u32_e32 v17, 0x800, v22
	s_wait_dscnt 0x1
	v_lshrrev_b32_e32 v5, 16, v1
	s_wait_dscnt 0x0
	v_lshrrev_b32_e32 v8, 16, v4
	v_add_f16_e32 v12, v1, v4
	v_sub_f16_e32 v1, v1, v4
	s_delay_alu instid0(VALU_DEP_3) | instskip(SKIP_1) | instid1(VALU_DEP_3)
	v_add_f16_e32 v4, v8, v5
	v_sub_f16_e32 v5, v5, v8
	v_fma_f16 v8, v1, v11, v12
	v_fma_f16 v12, -v1, v11, v12
	s_delay_alu instid0(VALU_DEP_3) | instskip(SKIP_1) | instid1(VALU_DEP_4)
	v_fma_f16 v13, v4, v11, v5
	v_fma_f16 v5, v4, v11, -v5
	v_fma_f16 v8, -v9, v4, v8
	s_delay_alu instid0(VALU_DEP_4) | instskip(NEXT) | instid1(VALU_DEP_4)
	v_fmac_f16_e32 v12, v9, v4
	v_fmac_f16_e32 v13, v1, v9
	s_delay_alu instid0(VALU_DEP_4) | instskip(SKIP_2) | instid1(VALU_DEP_3)
	v_fmac_f16_e32 v5, v1, v9
	s_wait_loadcnt 0x5
	v_lshrrev_b32_e32 v9, 16, v10
	v_pack_b32_f16 v1, v8, v13
	s_delay_alu instid0(VALU_DEP_3)
	v_pack_b32_f16 v4, v12, v5
	ds_store_b32 v22, v1 offset:2880
	ds_store_b32 v2, v4 offset:10944
	ds_load_b32 v1, v22 offset:3456
	ds_load_b32 v4, v2 offset:10368
	s_wait_dscnt 0x1
	v_lshrrev_b32_e32 v5, 16, v1
	s_wait_dscnt 0x0
	v_lshrrev_b32_e32 v8, 16, v4
	v_add_f16_e32 v11, v1, v4
	v_sub_f16_e32 v1, v1, v4
	s_delay_alu instid0(VALU_DEP_3) | instskip(SKIP_1) | instid1(VALU_DEP_3)
	v_add_f16_e32 v4, v8, v5
	v_sub_f16_e32 v5, v5, v8
	v_fma_f16 v8, v1, v9, v11
	v_fma_f16 v11, -v1, v9, v11
	s_delay_alu instid0(VALU_DEP_3) | instskip(SKIP_1) | instid1(VALU_DEP_4)
	v_fma_f16 v12, v4, v9, v5
	v_fma_f16 v5, v4, v9, -v5
	v_fma_f16 v8, -v10, v4, v8
	s_delay_alu instid0(VALU_DEP_4) | instskip(SKIP_4) | instid1(VALU_DEP_2)
	v_fmac_f16_e32 v11, v10, v4
	s_wait_loadcnt 0x4
	v_lshrrev_b32_e32 v9, 16, v3
	v_fmac_f16_e32 v12, v1, v10
	v_fmac_f16_e32 v5, v1, v10
	v_pack_b32_f16 v1, v8, v12
	s_delay_alu instid0(VALU_DEP_2)
	v_pack_b32_f16 v4, v11, v5
	ds_store_b32 v22, v1 offset:3456
	ds_store_b32 v2, v4 offset:10368
	ds_load_b32 v1, v22 offset:4032
	ds_load_b32 v4, v2 offset:9792
	s_wait_dscnt 0x1
	v_lshrrev_b32_e32 v5, 16, v1
	s_wait_dscnt 0x0
	v_lshrrev_b32_e32 v8, 16, v4
	v_add_f16_e32 v10, v1, v4
	v_sub_f16_e32 v1, v1, v4
	s_delay_alu instid0(VALU_DEP_3) | instskip(SKIP_1) | instid1(VALU_DEP_3)
	v_add_f16_e32 v4, v8, v5
	v_sub_f16_e32 v5, v5, v8
	v_fma_f16 v8, v1, v9, v10
	v_fma_f16 v10, -v1, v9, v10
	s_delay_alu instid0(VALU_DEP_3) | instskip(SKIP_1) | instid1(VALU_DEP_4)
	v_fma_f16 v11, v4, v9, v5
	v_fma_f16 v5, v4, v9, -v5
	v_fma_f16 v8, -v3, v4, v8
	s_delay_alu instid0(VALU_DEP_4) | instskip(NEXT) | instid1(VALU_DEP_4)
	v_fmac_f16_e32 v10, v3, v4
	v_fmac_f16_e32 v11, v1, v3
	s_delay_alu instid0(VALU_DEP_4) | instskip(NEXT) | instid1(VALU_DEP_2)
	v_fmac_f16_e32 v5, v1, v3
	v_pack_b32_f16 v1, v8, v11
	s_delay_alu instid0(VALU_DEP_2)
	v_pack_b32_f16 v3, v10, v5
	ds_store_b32 v22, v1 offset:4032
	ds_store_b32 v2, v3 offset:9792
	ds_load_b32 v1, v22 offset:4608
	ds_load_b32 v3, v2 offset:9216
	s_wait_loadcnt 0x3
	v_lshrrev_b32_e32 v8, 16, v14
	s_wait_dscnt 0x1
	v_lshrrev_b32_e32 v4, 16, v1
	s_wait_dscnt 0x0
	v_lshrrev_b32_e32 v5, 16, v3
	v_add_f16_e32 v9, v1, v3
	v_sub_f16_e32 v1, v1, v3
	s_delay_alu instid0(VALU_DEP_3) | instskip(SKIP_1) | instid1(VALU_DEP_3)
	v_add_f16_e32 v3, v5, v4
	v_sub_f16_e32 v4, v4, v5
	v_fma_f16 v5, v1, v8, v9
	v_fma_f16 v9, -v1, v8, v9
	s_delay_alu instid0(VALU_DEP_3) | instskip(SKIP_1) | instid1(VALU_DEP_4)
	v_fma_f16 v10, v3, v8, v4
	v_fma_f16 v4, v3, v8, -v4
	v_fma_f16 v5, -v14, v3, v5
	s_delay_alu instid0(VALU_DEP_4) | instskip(NEXT) | instid1(VALU_DEP_4)
	v_fmac_f16_e32 v9, v14, v3
	v_fmac_f16_e32 v10, v1, v14
	s_delay_alu instid0(VALU_DEP_4) | instskip(NEXT) | instid1(VALU_DEP_2)
	v_fmac_f16_e32 v4, v1, v14
	v_pack_b32_f16 v1, v5, v10
	s_delay_alu instid0(VALU_DEP_2)
	v_pack_b32_f16 v3, v9, v4
	ds_store_b32 v22, v1 offset:4608
	ds_store_b32 v2, v3 offset:9216
	ds_load_b32 v1, v22 offset:5184
	ds_load_b32 v3, v2 offset:8640
	s_wait_dscnt 0x1
	v_lshrrev_b32_e32 v4, 16, v1
	s_wait_dscnt 0x0
	v_lshrrev_b32_e32 v5, 16, v3
	v_add_f16_e32 v9, v1, v3
	v_sub_f16_e32 v1, v1, v3
	s_delay_alu instid0(VALU_DEP_3) | instskip(SKIP_3) | instid1(VALU_DEP_1)
	v_add_f16_e32 v3, v5, v4
	v_sub_f16_e32 v4, v4, v5
	s_wait_loadcnt 0x2
	v_lshrrev_b32_e32 v8, 16, v6
	v_fma_f16 v5, v1, v8, v9
	s_delay_alu instid0(VALU_DEP_3) | instskip(SKIP_2) | instid1(VALU_DEP_4)
	v_fma_f16 v10, v3, v8, v4
	v_fma_f16 v9, -v1, v8, v9
	v_fma_f16 v4, v3, v8, -v4
	v_fma_f16 v5, -v6, v3, v5
	s_delay_alu instid0(VALU_DEP_4) | instskip(NEXT) | instid1(VALU_DEP_4)
	v_fmac_f16_e32 v10, v1, v6
	v_fmac_f16_e32 v9, v6, v3
	s_delay_alu instid0(VALU_DEP_4) | instskip(NEXT) | instid1(VALU_DEP_3)
	v_fmac_f16_e32 v4, v1, v6
	v_pack_b32_f16 v1, v5, v10
	s_delay_alu instid0(VALU_DEP_2)
	v_pack_b32_f16 v3, v9, v4
	ds_store_b32 v22, v1 offset:5184
	ds_store_b32 v2, v3 offset:8640
	ds_load_b32 v1, v22 offset:5760
	ds_load_b32 v3, v2 offset:8064
	s_wait_dscnt 0x1
	v_lshrrev_b32_e32 v4, 16, v1
	s_wait_dscnt 0x0
	v_lshrrev_b32_e32 v5, 16, v3
	v_add_f16_e32 v8, v1, v3
	v_sub_f16_e32 v1, v1, v3
	s_wait_loadcnt 0x1
	v_lshrrev_b32_e32 v6, 16, v7
	v_add_f16_e32 v3, v5, v4
	v_sub_f16_e32 v4, v4, v5
	s_delay_alu instid0(VALU_DEP_3) | instskip(SKIP_1) | instid1(VALU_DEP_3)
	v_fma_f16 v5, v1, v6, v8
	v_fma_f16 v8, -v1, v6, v8
	v_fma_f16 v9, v3, v6, v4
	v_fma_f16 v4, v3, v6, -v4
	s_delay_alu instid0(VALU_DEP_4) | instskip(NEXT) | instid1(VALU_DEP_4)
	v_fma_f16 v5, -v7, v3, v5
	v_fmac_f16_e32 v8, v7, v3
	s_delay_alu instid0(VALU_DEP_4) | instskip(NEXT) | instid1(VALU_DEP_4)
	v_fmac_f16_e32 v9, v1, v7
	v_fmac_f16_e32 v4, v1, v7
	s_wait_loadcnt 0x0
	v_lshrrev_b32_e32 v7, 16, v0
	s_delay_alu instid0(VALU_DEP_3) | instskip(NEXT) | instid1(VALU_DEP_3)
	v_pack_b32_f16 v1, v5, v9
	v_pack_b32_f16 v3, v8, v4
	ds_store_b32 v22, v1 offset:5760
	ds_store_b32 v2, v3 offset:8064
	ds_load_b32 v1, v22 offset:6336
	ds_load_b32 v3, v2 offset:7488
	v_mul_u32_u24_e32 v4, 6, v16
	s_delay_alu instid0(VALU_DEP_1) | instskip(SKIP_2) | instid1(VALU_DEP_3)
	v_lshl_add_u32 v20, v4, 2, 0
	v_mul_lo_u16 v4, 0xab, v21
	v_mul_lo_u16 v21, v21, 57
	v_add_nc_u32_e32 v38, 0xd80, v20
	s_delay_alu instid0(VALU_DEP_3)
	v_lshrrev_b16 v37, 10, v4
	v_mul_u32_u24_e32 v4, 0xaaab, v36
	v_add_nc_u32_e32 v47, 0xd88, v20
	v_add_nc_u32_e32 v48, 0xd90, v20
	;; [unrolled: 1-line block ×4, first 2 shown]
	v_lshrrev_b32_e32 v39, 18, v4
	s_wait_dscnt 0x1
	v_lshrrev_b32_e32 v5, 16, v1
	s_wait_dscnt 0x0
	v_lshrrev_b32_e32 v6, 16, v3
	v_add_f16_e32 v8, v1, v3
	v_sub_f16_e32 v1, v1, v3
	v_mul_lo_u16 v12, v39, 6
	v_add_nc_u32_e32 v51, 0x1b10, v20
	v_add_f16_e32 v3, v6, v5
	v_sub_f16_e32 v5, v5, v6
	v_fma_f16 v6, v1, v7, v8
	v_fma_f16 v8, -v1, v7, v8
	v_sub_nc_u16 v55, v33, v12
	v_add_nc_u32_e32 v52, 0x2880, v20
	v_fma_f16 v9, v3, v7, v5
	v_fma_f16 v5, v3, v7, -v5
	v_mul_lo_u16 v7, v37, 6
	v_fma_f16 v6, -v0, v3, v6
	v_fmac_f16_e32 v8, v0, v3
	v_fmac_f16_e32 v9, v1, v0
	;; [unrolled: 1-line block ×3, first 2 shown]
	v_sub_nc_u16 v0, v16, v7
	v_add_nc_u32_e32 v53, 0x2888, v20
	v_add_nc_u32_e32 v54, 0x2890, v20
	v_pack_b32_f16 v1, v6, v9
	v_pack_b32_f16 v3, v8, v5
	v_and_b32_e32 v40, 0xff, v0
	ds_store_b32 v22, v1 offset:6336
	ds_store_b32 v2, v3 offset:7488
	global_wb scope:SCOPE_SE
	s_wait_dscnt 0x0
	v_mul_u32_u24_e32 v13, 5, v40
	s_barrier_signal -1
	s_barrier_wait -1
	global_inv scope:SCOPE_SE
	global_wb scope:SCOPE_SE
	s_barrier_signal -1
	s_barrier_wait -1
	global_inv scope:SCOPE_SE
	ds_load_2addr_b32 v[0:1], v22 offset1:144
	ds_load_2addr_b32 v[2:3], v17 offset0:64 offset1:208
	ds_load_2addr_b32 v[4:5], v24 offset1:144
	ds_load_2addr_b32 v[6:7], v25 offset0:64 offset1:208
	ds_load_2addr_b32 v[8:9], v23 offset1:144
	ds_load_2addr_b32 v[10:11], v26 offset0:64 offset1:208
	v_lshlrev_b32_e32 v56, 2, v13
	ds_load_2addr_b32 v[12:13], v27 offset0:32 offset1:176
	ds_load_2addr_b32 v[14:15], v29 offset0:96 offset1:240
	;; [unrolled: 1-line block ×6, first 2 shown]
	global_wb scope:SCOPE_SE
	s_wait_dscnt 0x0
	s_barrier_signal -1
	s_barrier_wait -1
	global_inv scope:SCOPE_SE
	v_lshrrev_b16 v21, 11, v21
	v_mul_u32_u24_e32 v36, 0xe38f, v36
	v_and_b32_e32 v37, 0xffff, v37
	v_lshlrev_b32_e32 v40, 2, v40
	s_delay_alu instid0(VALU_DEP_3)
	v_lshrrev_b32_e32 v36, 21, v36
	v_pk_add_f16 v57, v0, v4
	v_pk_add_f16 v58, v2, v6
	v_pk_add_f16 v59, v4, v8
	v_pk_add_f16 v4, v4, v8 neg_lo:[0,1] neg_hi:[0,1]
	v_pk_add_f16 v60, v6, v10
	v_pk_add_f16 v61, v1, v5
	v_pk_add_f16 v62, v3, v7
	v_pk_add_f16 v63, v5, v9
	v_pk_add_f16 v5, v5, v9 neg_lo:[0,1] neg_hi:[0,1]
	v_pk_add_f16 v64, v7, v11
	;; [unrolled: 5-line block ×3, first 2 shown]
	v_pk_add_f16 v69, v13, v35
	v_pk_add_f16 v71, v35, v44
	v_pk_add_f16 v35, v35, v44 neg_lo:[0,1] neg_hi:[0,1]
	v_pk_add_f16 v72, v42, v46
	v_pk_add_f16 v6, v6, v10 neg_lo:[0,1] neg_hi:[0,1]
	v_pk_fma_f16 v0, v59, 0.5, v0 op_sel_hi:[1,0,1] neg_lo:[1,0,0] neg_hi:[1,0,0]
	v_pk_mul_f16 v4, 0x3aee, v4 op_sel_hi:[0,1]
	v_pk_fma_f16 v2, v60, 0.5, v2 op_sel_hi:[1,0,1] neg_lo:[1,0,0] neg_hi:[1,0,0]
	v_pk_add_f16 v7, v7, v11 neg_lo:[0,1] neg_hi:[0,1]
	v_pk_add_f16 v41, v41, v45 neg_lo:[0,1] neg_hi:[0,1]
	v_pk_add_f16 v70, v15, v42
	v_pk_add_f16 v42, v42, v46 neg_lo:[0,1] neg_hi:[0,1]
	v_pk_add_f16 v8, v57, v8
	v_pk_add_f16 v10, v58, v10
	;; [unrolled: 1-line block ×4, first 2 shown]
	v_pk_fma_f16 v1, v63, 0.5, v1 op_sel_hi:[1,0,1] neg_lo:[1,0,0] neg_hi:[1,0,0]
	v_pk_mul_f16 v5, 0x3aee, v5 op_sel_hi:[0,1]
	v_pk_fma_f16 v3, v64, 0.5, v3 op_sel_hi:[1,0,1] neg_lo:[1,0,0] neg_hi:[1,0,0]
	v_pk_add_f16 v43, v65, v43
	v_pk_add_f16 v45, v66, v45
	v_pk_fma_f16 v12, v67, 0.5, v12 op_sel_hi:[1,0,1] neg_lo:[1,0,0] neg_hi:[1,0,0]
	v_pk_mul_f16 v34, 0x3aee, v34 op_sel_hi:[0,1]
	v_pk_fma_f16 v14, v68, 0.5, v14 op_sel_hi:[1,0,1] neg_lo:[1,0,0] neg_hi:[1,0,0]
	v_pk_fma_f16 v13, v71, 0.5, v13 op_sel_hi:[1,0,1] neg_lo:[1,0,0] neg_hi:[1,0,0]
	v_pk_mul_f16 v35, 0x3aee, v35 op_sel_hi:[0,1]
	v_pk_fma_f16 v15, v72, 0.5, v15 op_sel_hi:[1,0,1] neg_lo:[1,0,0] neg_hi:[1,0,0]
	v_pk_add_f16 v58, v0, v4 op_sel:[0,1] op_sel_hi:[1,0]
	v_pk_add_f16 v0, v0, v4 op_sel:[0,1] op_sel_hi:[1,0] neg_lo:[0,1] neg_hi:[0,1]
	v_pk_fma_f16 v4, 0x3aee, v6, v2 op_sel:[0,0,1] op_sel_hi:[0,1,0]
	v_pk_fma_f16 v2, 0x3aee, v6, v2 op_sel:[0,0,1] op_sel_hi:[0,1,0] neg_lo:[0,1,0] neg_hi:[0,1,0]
	v_pk_add_f16 v57, v8, v10
	v_pk_add_f16 v6, v8, v10 neg_lo:[0,1] neg_hi:[0,1]
	v_pk_add_f16 v8, v9, v11
	v_pk_add_f16 v10, v1, v5 op_sel:[0,1] op_sel_hi:[1,0]
	v_pk_add_f16 v1, v1, v5 op_sel:[0,1] op_sel_hi:[1,0] neg_lo:[0,1] neg_hi:[0,1]
	v_pk_fma_f16 v5, 0x3aee, v7, v3 op_sel:[0,0,1] op_sel_hi:[0,1,0]
	v_pk_fma_f16 v3, 0x3aee, v7, v3 op_sel:[0,0,1] op_sel_hi:[0,1,0] neg_lo:[0,1,0] neg_hi:[0,1,0]
	v_pk_add_f16 v7, v9, v11 neg_lo:[0,1] neg_hi:[0,1]
	v_pk_add_f16 v9, v43, v45
	v_pk_add_f16 v11, v12, v34 op_sel:[0,1] op_sel_hi:[1,0]
	v_pk_add_f16 v12, v12, v34 op_sel:[0,1] op_sel_hi:[1,0] neg_lo:[0,1] neg_hi:[0,1]
	v_pk_fma_f16 v34, 0x3aee, v41, v14 op_sel:[0,0,1] op_sel_hi:[0,1,0]
	v_pk_fma_f16 v14, 0x3aee, v41, v14 op_sel:[0,0,1] op_sel_hi:[0,1,0] neg_lo:[0,1,0] neg_hi:[0,1,0]
	v_pk_add_f16 v41, v43, v45 neg_lo:[0,1] neg_hi:[0,1]
	v_pk_add_f16 v45, v13, v35 op_sel:[0,1] op_sel_hi:[1,0]
	v_pk_add_f16 v13, v13, v35 op_sel:[0,1] op_sel_hi:[1,0] neg_lo:[0,1] neg_hi:[0,1]
	v_pk_fma_f16 v35, 0x3aee, v42, v15 op_sel:[0,0,1] op_sel_hi:[0,1,0]
	v_pk_fma_f16 v15, 0x3aee, v42, v15 op_sel:[0,0,1] op_sel_hi:[0,1,0] neg_lo:[0,1,0] neg_hi:[0,1,0]
	v_lshrrev_b32_e32 v59, 16, v4
	v_bfi_b32 v4, 0xffff, v4, v2
	v_mul_f16_e32 v60, 0x3aee, v2
	v_pk_add_f16 v44, v69, v44
	v_pk_add_f16 v46, v70, v46
	v_lshrrev_b32_e32 v64, 16, v5
	v_bfi_b32 v5, 0xffff, v5, v3
	v_mul_f16_e32 v65, 0x3aee, v3
	v_lshrrev_b32_e32 v69, 16, v34
	v_bfi_b32 v34, 0xffff, v34, v14
	v_mul_f16_e32 v70, 0x3aee, v14
	;; [unrolled: 3-line block ×3, first 2 shown]
	v_fmac_f16_e32 v60, 0.5, v59
	v_mul_f16_e32 v59, 0xbaee, v59
	v_pk_mul_f16 v77, v4, 0.5 op_sel_hi:[1,0]
	v_fmac_f16_e32 v65, 0.5, v64
	v_mul_f16_e32 v64, 0xbaee, v64
	v_pk_mul_f16 v78, v5, 0.5 op_sel_hi:[1,0]
	;; [unrolled: 3-line block ×4, first 2 shown]
	v_pk_add_f16 v43, v44, v46
	v_pk_add_f16 v42, v44, v46 neg_lo:[0,1] neg_hi:[0,1]
	v_bfi_b32 v46, 0xffff, v0, v58
	v_fmac_f16_e32 v59, 0.5, v2
	v_pk_fma_f16 v2, 0xbaee3aee, v4, v77 op_sel:[0,0,1] op_sel_hi:[1,1,0] neg_lo:[0,0,1] neg_hi:[0,0,1]
	v_lshrrev_b32_e32 v44, 16, v0
	v_lshrrev_b32_e32 v62, 16, v1
	v_bfi_b32 v63, 0xffff, v1, v10
	v_lshrrev_b32_e32 v67, 16, v12
	v_bfi_b32 v68, 0xffff, v12, v11
	v_bfi_b32 v73, 0xffff, v13, v45
	v_fmac_f16_e32 v64, 0.5, v3
	v_pk_fma_f16 v3, 0xbaee3aee, v5, v78 op_sel:[0,0,1] op_sel_hi:[1,1,0] neg_lo:[0,0,1] neg_hi:[0,0,1]
	v_fmac_f16_e32 v69, 0.5, v14
	v_pk_fma_f16 v14, 0xbaee3aee, v34, v79 op_sel:[0,0,1] op_sel_hi:[1,1,0] neg_lo:[0,0,1] neg_hi:[0,0,1]
	;; [unrolled: 2-line block ×3, first 2 shown]
	v_lshrrev_b32_e32 v61, 16, v58
	v_lshrrev_b32_e32 v76, 16, v45
	v_add_f16_e32 v34, v45, v75
	v_sub_f16_e32 v35, v45, v75
	v_pk_add_f16 v45, v46, v2
	v_lshrrev_b32_e32 v46, 16, v2
	v_pack_b32_f16 v2, v59, v2
	v_lshrrev_b32_e32 v66, 16, v10
	v_lshrrev_b32_e32 v71, 16, v11
	;; [unrolled: 1-line block ×3, first 2 shown]
	v_add_f16_e32 v81, v58, v60
	v_sub_f16_e32 v4, v58, v60
	v_add_f16_e32 v58, v10, v65
	v_sub_f16_e32 v5, v10, v65
	v_add_f16_e32 v44, v44, v59
	v_add_f16_e32 v59, v62, v64
	v_pk_add_f16 v60, v63, v3
	v_lshrrev_b32_e32 v62, 16, v3
	v_pack_b32_f16 v3, v64, v3
	v_add_f16_e32 v63, v67, v69
	v_pk_add_f16 v64, v68, v14
	v_lshrrev_b32_e32 v65, 16, v14
	v_pack_b32_f16 v14, v69, v14
	v_pk_add_f16 v68, v73, v15
	v_lshrrev_b32_e32 v69, 16, v15
	v_pack_b32_f16 v15, v74, v15
	v_sub_f16_e32 v46, v61, v46
	v_pk_add_f16 v0, v0, v2 op_sel:[1,0] op_sel_hi:[0,1] neg_lo:[0,1] neg_hi:[0,1]
	v_add_f16_e32 v10, v11, v70
	v_sub_f16_e32 v11, v11, v70
	v_add_f16_e32 v67, v72, v74
	v_sub_f16_e32 v2, v66, v62
	v_pk_add_f16 v1, v1, v3 op_sel:[1,0] op_sel_hi:[0,1] neg_lo:[0,1] neg_hi:[0,1]
	v_sub_f16_e32 v3, v71, v65
	v_pk_add_f16 v12, v12, v14 op_sel:[1,0] op_sel_hi:[0,1] neg_lo:[0,1] neg_hi:[0,1]
	v_pack_b32_f16 v14, v81, v44
	v_pack_b32_f16 v44, v58, v59
	v_sub_f16_e32 v58, v76, v69
	v_pk_add_f16 v13, v13, v15 op_sel:[1,0] op_sel_hi:[0,1] neg_lo:[0,1] neg_hi:[0,1]
	v_alignbit_b32 v15, v46, v0, 16
	v_pack_b32_f16 v0, v4, v0
	v_pack_b32_f16 v10, v10, v63
	;; [unrolled: 1-line block ×3, first 2 shown]
	v_alignbit_b32 v2, v2, v1, 16
	v_pack_b32_f16 v1, v5, v1
	v_alignbit_b32 v3, v3, v12, 16
	v_pack_b32_f16 v4, v11, v12
	;; [unrolled: 2-line block ×3, first 2 shown]
	ds_store_2addr_b32 v20, v57, v14 offset1:1
	ds_store_2addr_b32 v20, v45, v6 offset0:2 offset1:3
	ds_store_2addr_b32 v20, v0, v15 offset0:4 offset1:5
	ds_store_2addr_b32 v38, v8, v44 offset1:1
	ds_store_2addr_b32 v47, v60, v7 offset1:1
	;; [unrolled: 1-line block ×9, first 2 shown]
	v_add_nc_u32_e32 v20, 0x120, v16
	global_wb scope:SCOPE_SE
	s_wait_dscnt 0x0
	s_barrier_signal -1
	s_barrier_wait -1
	global_inv scope:SCOPE_SE
	v_and_b32_e32 v35, 0xffff, v20
	global_load_b128 v[0:3], v56, s[4:5]
	v_and_b32_e32 v45, 0xffff, v55
	v_add_nc_u32_e32 v34, 0x1b0, v16
	v_mul_lo_u16 v50, v21, 36
	v_mul_u32_u24_e32 v5, 0xaaab, v35
	v_mul_u32_u24_e32 v51, 0x90, v37
	;; [unrolled: 1-line block ×3, first 2 shown]
	v_and_b32_e32 v38, 0xffff, v34
	v_sub_nc_u16 v50, v16, v50
	v_lshrrev_b32_e32 v46, 18, v5
	v_mul_u32_u24_e32 v55, 0x90, v39
	v_lshlrev_b32_e32 v4, 2, v4
	v_mul_lo_u16 v39, v36, 36
	v_and_b32_e32 v37, 0xff, v50
	v_mul_lo_u16 v5, v46, 6
	v_add3_u32 v68, 0, v51, v40
	global_load_b128 v[8:11], v4, s[4:5]
	v_sub_nc_u16 v67, v33, v39
	v_mul_u32_u24_e32 v52, 5, v37
	v_sub_nc_u16 v5, v20, v5
	v_lshlrev_b32_e32 v58, 2, v45
	v_lshlrev_b32_e32 v37, 2, v37
	s_delay_alu instid0(VALU_DEP_4) | instskip(NEXT) | instid1(VALU_DEP_4)
	v_lshlrev_b32_e32 v69, 2, v52
	v_and_b32_e32 v47, 0xffff, v5
	s_delay_alu instid0(VALU_DEP_4) | instskip(NEXT) | instid1(VALU_DEP_2)
	v_add3_u32 v70, 0, v55, v58
	v_mul_u32_u24_e32 v5, 5, v47
	v_lshlrev_b32_e32 v59, 2, v47
	s_delay_alu instid0(VALU_DEP_2)
	v_lshlrev_b32_e32 v41, 2, v5
	v_mul_u32_u24_e32 v5, 0xaaab, v38
	global_load_b128 v[12:15], v41, s[4:5]
	v_lshrrev_b32_e32 v48, 18, v5
	s_clause 0x1
	global_load_b32 v44, v56, s[4:5] offset:16
	global_load_b32 v42, v4, s[4:5] offset:16
	v_mul_u32_u24_e32 v56, 0x90, v46
	v_mul_lo_u16 v5, v48, 6
	v_mul_u32_u24_e32 v57, 0x90, v48
	s_delay_alu instid0(VALU_DEP_3) | instskip(NEXT) | instid1(VALU_DEP_3)
	v_add3_u32 v71, 0, v56, v59
	v_sub_nc_u16 v5, v34, v5
	s_delay_alu instid0(VALU_DEP_1) | instskip(NEXT) | instid1(VALU_DEP_1)
	v_and_b32_e32 v49, 0xffff, v5
	v_mul_u32_u24_e32 v4, 5, v49
	v_lshlrev_b32_e32 v60, 2, v49
	s_delay_alu instid0(VALU_DEP_2)
	v_lshlrev_b32_e32 v43, 2, v4
	s_clause 0x2
	global_load_b128 v[4:7], v43, s[4:5]
	global_load_b32 v41, v41, s[4:5] offset:16
	global_load_b32 v43, v43, s[4:5] offset:16
	ds_load_2addr_b32 v[39:40], v22 offset1:144
	ds_load_2addr_b32 v[45:46], v25 offset0:64 offset1:208
	ds_load_2addr_b32 v[47:48], v23 offset1:144
	ds_load_2addr_b32 v[49:50], v26 offset0:64 offset1:208
	ds_load_2addr_b32 v[51:52], v17 offset0:64 offset1:208
	ds_load_2addr_b32 v[53:54], v24 offset1:144
	v_add3_u32 v72, 0, v57, v60
	ds_load_2addr_b32 v[55:56], v27 offset0:32 offset1:176
	ds_load_2addr_b32 v[57:58], v29 offset0:96 offset1:240
	;; [unrolled: 1-line block ×6, first 2 shown]
	global_wb scope:SCOPE_SE
	s_wait_loadcnt_dscnt 0x0
	s_barrier_signal -1
	s_barrier_wait -1
	global_inv scope:SCOPE_SE
	v_lshrrev_b32_e32 v73, 16, v39
	v_lshrrev_b32_e32 v74, 16, v45
	;; [unrolled: 1-line block ×18, first 2 shown]
	s_delay_alu instid0(VALU_DEP_4) | instskip(NEXT) | instid1(VALU_DEP_4)
	v_mul_f16_e32 v89, v84, v51
	v_mul_f16_e32 v92, v87, v53
	;; [unrolled: 1-line block ×4, first 2 shown]
	s_delay_alu instid0(VALU_DEP_4)
	v_fmac_f16_e32 v89, v0, v86
	v_mul_f16_e32 v86, v45, v90
	v_fmac_f16_e32 v92, v1, v88
	v_mul_f16_e32 v88, v47, v91
	v_mul_f16_e32 v90, v74, v90
	;; [unrolled: 1-line block ×3, first 2 shown]
	v_fmac_f16_e32 v86, v74, v2
	v_lshrrev_b32_e32 v74, 16, v8
	v_fmac_f16_e32 v88, v75, v3
	v_lshrrev_b32_e32 v75, 16, v9
	v_fma_f16 v0, v0, v51, -v84
	v_fma_f16 v2, v45, v2, -v90
	v_mul_f16_e32 v45, v78, v74
	v_lshrrev_b32_e32 v51, 16, v10
	v_fma_f16 v1, v1, v53, -v87
	v_mul_f16_e32 v53, v52, v74
	v_mul_f16_e32 v74, v79, v75
	v_fma_f16 v45, v52, v8, -v45
	v_lshrrev_b32_e32 v52, 16, v11
	v_mul_f16_e32 v75, v54, v75
	v_mul_f16_e32 v84, v80, v51
	;; [unrolled: 1-line block ×3, first 2 shown]
	v_fma_f16 v54, v54, v9, -v74
	v_mul_f16_e32 v87, v81, v52
	v_mul_f16_e32 v52, v48, v52
	v_fma_f16 v46, v46, v10, -v84
	v_fmac_f16_e32 v75, v79, v9
	v_fmac_f16_e32 v51, v80, v10
	v_fma_f16 v3, v47, v3, -v91
	v_lshrrev_b32_e32 v9, 16, v12
	v_lshrrev_b32_e32 v10, 16, v13
	;; [unrolled: 1-line block ×3, first 2 shown]
	v_fmac_f16_e32 v53, v78, v8
	v_fmac_f16_e32 v52, v81, v11
	v_mul_f16_e32 v78, v57, v9
	v_lshrrev_b32_e32 v79, 16, v14
	v_lshrrev_b32_e32 v80, 16, v15
	v_mul_f16_e32 v81, v59, v10
	v_lshrrev_b32_e32 v74, 16, v61
	v_lshrrev_b32_e32 v84, 16, v63
	v_mul_f16_e32 v9, v85, v9
	v_fmac_f16_e32 v78, v85, v12
	v_mul_f16_e32 v85, v61, v79
	v_mul_f16_e32 v10, v47, v10
	v_fmac_f16_e32 v81, v47, v13
	v_mul_f16_e32 v47, v63, v80
	v_mul_f16_e32 v79, v74, v79
	v_fmac_f16_e32 v85, v74, v14
	v_lshrrev_b32_e32 v74, 16, v44
	v_mul_f16_e32 v80, v84, v80
	v_fmac_f16_e32 v47, v84, v15
	v_lshrrev_b32_e32 v84, 16, v42
	v_lshrrev_b32_e32 v91, 16, v58
	v_fma_f16 v9, v57, v12, -v9
	v_fma_f16 v10, v59, v13, -v10
	;; [unrolled: 1-line block ×4, first 2 shown]
	v_mul_f16_e32 v14, v49, v74
	v_mul_f16_e32 v59, v76, v74
	v_mul_f16_e32 v61, v82, v84
	v_lshrrev_b32_e32 v63, 16, v4
	v_lshrrev_b32_e32 v8, 16, v60
	v_fmac_f16_e32 v14, v76, v44
	v_mul_f16_e32 v74, v50, v84
	v_fma_f16 v44, v49, v44, -v59
	v_fma_f16 v50, v50, v42, -v61
	v_lshrrev_b32_e32 v59, 16, v5
	v_mul_f16_e32 v61, v91, v63
	v_lshrrev_b32_e32 v90, 16, v65
	v_lshrrev_b32_e32 v15, 16, v64
	;; [unrolled: 1-line block ×3, first 2 shown]
	v_mul_f16_e32 v63, v58, v63
	v_mul_f16_e32 v76, v8, v59
	v_fma_f16 v58, v58, v4, -v61
	v_lshrrev_b32_e32 v61, 16, v7
	v_fma_f16 v48, v48, v11, -v87
	v_lshrrev_b32_e32 v11, 16, v62
	v_lshrrev_b32_e32 v57, 16, v66
	v_fmac_f16_e32 v74, v82, v42
	v_lshrrev_b32_e32 v42, 16, v6
	v_mul_f16_e32 v79, v65, v49
	v_mul_f16_e32 v59, v60, v59
	v_fma_f16 v60, v60, v5, -v76
	v_lshrrev_b32_e32 v76, 16, v43
	v_mul_f16_e32 v49, v90, v49
	v_mul_f16_e32 v82, v15, v61
	;; [unrolled: 1-line block ×5, first 2 shown]
	v_fmac_f16_e32 v79, v90, v41
	v_fma_f16 v41, v65, v41, -v49
	v_mul_f16_e32 v49, v57, v76
	v_mul_f16_e32 v65, v66, v76
	v_fmac_f16_e32 v59, v8, v5
	v_fma_f16 v5, v64, v7, -v82
	v_fmac_f16_e32 v61, v15, v7
	v_add_f16_e32 v7, v39, v1
	v_lshrrev_b32_e32 v87, 16, v56
	v_fmac_f16_e32 v63, v91, v4
	v_fma_f16 v4, v62, v6, -v80
	v_fmac_f16_e32 v42, v11, v6
	v_fma_f16 v6, v66, v43, -v49
	v_fmac_f16_e32 v65, v57, v43
	v_add_f16_e32 v8, v1, v3
	v_sub_f16_e32 v11, v92, v88
	v_add_f16_e32 v15, v73, v92
	v_add_f16_e32 v43, v92, v88
	v_sub_f16_e32 v1, v1, v3
	v_add_f16_e32 v49, v0, v2
	v_add_f16_e32 v57, v2, v44
	v_sub_f16_e32 v62, v86, v14
	v_add_f16_e32 v64, v89, v86
	v_add_f16_e32 v66, v86, v14
	v_add_f16_e32 v76, v40, v54
	;; [unrolled: 1-line block ×3, first 2 shown]
	v_sub_f16_e32 v82, v75, v52
	v_add_f16_e32 v84, v77, v75
	v_add_f16_e32 v75, v75, v52
	;; [unrolled: 1-line block ×4, first 2 shown]
	v_sub_f16_e32 v91, v51, v74
	v_add_f16_e32 v92, v53, v51
	v_add_f16_e32 v51, v51, v74
	;; [unrolled: 1-line block ×4, first 2 shown]
	v_sub_f16_e32 v2, v2, v44
	v_sub_f16_e32 v54, v54, v48
	;; [unrolled: 1-line block ×3, first 2 shown]
	v_add_f16_e32 v15, v15, v88
	v_add_f16_e32 v88, v10, v13
	v_fmac_f16_e32 v73, -0.5, v43
	v_sub_f16_e32 v43, v81, v47
	v_add_f16_e32 v44, v49, v44
	v_add_f16_e32 v49, v83, v81
	;; [unrolled: 1-line block ×3, first 2 shown]
	v_sub_f16_e32 v10, v10, v13
	v_fmac_f16_e32 v0, -0.5, v57
	v_add_f16_e32 v57, v9, v12
	v_add_f16_e32 v14, v64, v14
	;; [unrolled: 1-line block ×3, first 2 shown]
	v_fmac_f16_e32 v89, -0.5, v66
	v_sub_f16_e32 v66, v85, v79
	v_add_f16_e32 v48, v76, v48
	v_add_f16_e32 v76, v78, v85
	;; [unrolled: 1-line block ×3, first 2 shown]
	v_fmac_f16_e32 v40, -0.5, v80
	v_add_f16_e32 v80, v56, v60
	v_fmac_f16_e32 v77, -0.5, v75
	v_sub_f16_e32 v75, v59, v61
	v_add_f16_e32 v50, v86, v50
	v_add_f16_e32 v86, v87, v59
	;; [unrolled: 1-line block ×3, first 2 shown]
	v_fmac_f16_e32 v45, -0.5, v90
	v_add_f16_e32 v90, v58, v4
	v_add_f16_e32 v74, v92, v74
	;; [unrolled: 1-line block ×3, first 2 shown]
	v_fmac_f16_e32 v53, -0.5, v51
	v_sub_f16_e32 v51, v42, v65
	v_add_f16_e32 v7, v7, v13
	v_add_f16_e32 v13, v63, v42
	;; [unrolled: 1-line block ×3, first 2 shown]
	v_fma_f16 v8, -0.5, v8, v39
	v_add_f16_e32 v52, v84, v52
	v_add_f16_e32 v84, v60, v5
	v_sub_f16_e32 v12, v12, v41
	v_sub_f16_e32 v60, v60, v5
	;; [unrolled: 1-line block ×3, first 2 shown]
	v_fma_f16 v39, -0.5, v88, v55
	v_add_f16_e32 v47, v49, v47
	v_fmac_f16_e32 v83, -0.5, v81
	v_add_f16_e32 v41, v57, v41
	v_fmac_f16_e32 v9, -0.5, v64
	;; [unrolled: 2-line block ×3, first 2 shown]
	v_add_f16_e32 v5, v80, v5
	v_add_f16_e32 v55, v86, v61
	v_fmac_f16_e32 v87, -0.5, v59
	v_add_f16_e32 v6, v90, v6
	v_fmac_f16_e32 v58, -0.5, v92
	;; [unrolled: 2-line block ×3, first 2 shown]
	v_fmamk_f16 v42, v11, 0x3aee, v8
	v_fmac_f16_e32 v8, 0xbaee, v11
	v_fmamk_f16 v11, v1, 0xbaee, v73
	v_fmac_f16_e32 v73, 0x3aee, v1
	v_fmamk_f16 v1, v62, 0x3aee, v0
	v_fmamk_f16 v57, v2, 0xbaee, v89
	v_fmac_f16_e32 v56, -0.5, v84
	v_fmac_f16_e32 v0, 0xbaee, v62
	v_fmac_f16_e32 v89, 0x3aee, v2
	v_add_f16_e32 v2, v3, v44
	v_sub_f16_e32 v3, v3, v44
	v_fmamk_f16 v44, v54, 0xbaee, v77
	v_fmac_f16_e32 v77, 0x3aee, v54
	v_fmamk_f16 v54, v91, 0x3aee, v45
	v_fmamk_f16 v61, v46, 0xbaee, v53
	v_fmac_f16_e32 v45, 0xbaee, v91
	v_fmac_f16_e32 v53, 0x3aee, v46
	v_add_f16_e32 v59, v15, v14
	v_sub_f16_e32 v14, v15, v14
	v_add_f16_e32 v46, v48, v50
	v_add_f16_e32 v62, v52, v74
	v_sub_f16_e32 v48, v48, v50
	v_sub_f16_e32 v50, v52, v74
	v_fmamk_f16 v52, v43, 0x3aee, v39
	v_fmac_f16_e32 v39, 0xbaee, v43
	v_fmamk_f16 v43, v10, 0xbaee, v83
	v_fmac_f16_e32 v83, 0x3aee, v10
	;; [unrolled: 2-line block ×4, first 2 shown]
	v_add_f16_e32 v12, v7, v41
	v_add_f16_e32 v65, v47, v49
	v_sub_f16_e32 v7, v7, v41
	v_sub_f16_e32 v41, v47, v49
	v_fmamk_f16 v49, v60, 0xbaee, v87
	v_fmac_f16_e32 v87, 0x3aee, v60
	v_fmamk_f16 v60, v51, 0x3aee, v58
	v_fmac_f16_e32 v58, 0xbaee, v51
	;; [unrolled: 2-line block ×3, first 2 shown]
	v_add_f16_e32 v4, v5, v6
	v_add_f16_e32 v66, v55, v13
	v_sub_f16_e32 v5, v5, v6
	v_sub_f16_e32 v6, v55, v13
	v_mul_f16_e32 v13, 0x3aee, v57
	v_mul_f16_e32 v74, 0xbaee, v1
	v_fmamk_f16 v47, v75, 0x3aee, v56
	v_fmac_f16_e32 v56, 0xbaee, v75
	v_mul_f16_e32 v55, -0.5, v0
	v_mul_f16_e32 v75, -0.5, v89
	v_mul_f16_e32 v76, 0x3aee, v61
	v_mul_f16_e32 v80, 0xbaee, v54
	v_mul_f16_e32 v79, -0.5, v45
	v_mul_f16_e32 v81, -0.5, v53
	v_fmamk_f16 v15, v82, 0x3aee, v40
	v_fmac_f16_e32 v40, 0xbaee, v82
	v_mul_f16_e32 v82, 0x3aee, v64
	v_mul_f16_e32 v84, -0.5, v9
	v_mul_f16_e32 v85, 0xbaee, v10
	v_mul_f16_e32 v86, -0.5, v78
	;; [unrolled: 2-line block ×3, first 2 shown]
	v_pack_b32_f16 v2, v2, v59
	v_mul_f16_e32 v59, 0xbaee, v60
	v_pack_b32_f16 v3, v3, v14
	v_mul_f16_e32 v14, -0.5, v63
	v_fmac_f16_e32 v13, 0.5, v1
	v_fmac_f16_e32 v74, 0.5, v57
	v_fmac_f16_e32 v55, 0x3aee, v89
	v_fmac_f16_e32 v75, 0xbaee, v0
	v_fmac_f16_e32 v76, 0.5, v54
	v_fmac_f16_e32 v80, 0.5, v61
	v_fmac_f16_e32 v79, 0x3aee, v53
	v_fmac_f16_e32 v81, 0xbaee, v45
	v_pack_b32_f16 v5, v5, v6
	v_fmac_f16_e32 v82, 0.5, v10
	v_fmac_f16_e32 v84, 0x3aee, v78
	v_fmac_f16_e32 v85, 0.5, v64
	v_fmac_f16_e32 v86, 0xbaee, v9
	v_fmac_f16_e32 v88, 0.5, v60
	v_fmac_f16_e32 v90, 0x3aee, v63
	v_fmac_f16_e32 v59, 0.5, v51
	v_fmac_f16_e32 v14, 0xbaee, v58
	v_add_f16_e32 v0, v42, v13
	v_add_f16_e32 v6, v11, v74
	;; [unrolled: 1-line block ×4, first 2 shown]
	v_sub_f16_e32 v10, v42, v13
	v_sub_f16_e32 v8, v8, v55
	;; [unrolled: 1-line block ×4, first 2 shown]
	v_pack_b32_f16 v7, v7, v41
	v_add_f16_e32 v41, v15, v76
	v_add_f16_e32 v45, v44, v80
	v_pack_b32_f16 v48, v48, v50
	v_add_f16_e32 v42, v40, v79
	v_add_f16_e32 v50, v77, v81
	v_pack_b32_f16 v46, v46, v62
	v_sub_f16_e32 v15, v15, v76
	v_sub_f16_e32 v40, v40, v79
	;; [unrolled: 1-line block ×4, first 2 shown]
	v_add_f16_e32 v53, v52, v82
	v_add_f16_e32 v54, v39, v84
	;; [unrolled: 1-line block ×4, first 2 shown]
	v_sub_f16_e32 v52, v52, v82
	v_sub_f16_e32 v39, v39, v84
	;; [unrolled: 1-line block ×4, first 2 shown]
	v_add_f16_e32 v60, v47, v88
	v_add_f16_e32 v61, v56, v90
	;; [unrolled: 1-line block ×4, first 2 shown]
	v_sub_f16_e32 v47, v47, v88
	v_sub_f16_e32 v56, v56, v90
	v_sub_f16_e32 v49, v49, v59
	v_sub_f16_e32 v14, v87, v14
	v_pack_b32_f16 v0, v0, v6
	v_pack_b32_f16 v1, v1, v9
	;; [unrolled: 1-line block ×18, first 2 shown]
	ds_store_2addr_b32 v68, v2, v0 offset1:6
	ds_store_2addr_b32 v68, v1, v3 offset0:12 offset1:18
	ds_store_2addr_b32 v68, v6, v8 offset0:24 offset1:30
	ds_store_2addr_b32 v70, v46, v9 offset1:6
	ds_store_2addr_b32 v70, v10, v48 offset0:12 offset1:18
	ds_store_2addr_b32 v70, v11, v13 offset0:24 offset1:30
	;; [unrolled: 3-line block ×4, first 2 shown]
	v_mul_u32_u24_e32 v5, 0xe38f, v35
	global_wb scope:SCOPE_SE
	s_wait_dscnt 0x0
	s_barrier_signal -1
	s_barrier_wait -1
	global_inv scope:SCOPE_SE
	global_load_b128 v[0:3], v69, s[4:5] offset:120
	v_and_b32_e32 v43, 0xffff, v67
	v_lshrrev_b32_e32 v46, 21, v5
	v_mul_u32_u24_e32 v6, 0xe38f, v38
	v_dual_mov_b32 v21, 0 :: v_dual_and_b32 v44, 0xffff, v21
	s_delay_alu instid0(VALU_DEP_4) | instskip(NEXT) | instid1(VALU_DEP_4)
	v_mul_u32_u24_e32 v4, 5, v43
	v_mul_lo_u16 v5, v46, 36
	s_delay_alu instid0(VALU_DEP_4) | instskip(NEXT) | instid1(VALU_DEP_4)
	v_lshrrev_b32_e32 v48, 21, v6
	v_mul_u32_u24_e32 v50, 0x360, v44
	v_mul_u32_u24_e32 v56, 0x360, v46
	v_lshlrev_b32_e32 v4, 2, v4
	v_sub_nc_u16 v5, v20, v5
	v_mul_lo_u16 v6, v48, 36
	v_mul_u32_u24_e32 v62, 0x360, v48
	v_lshlrev_b32_e32 v43, 2, v43
	global_load_b128 v[8:11], v4, s[4:5] offset:120
	v_and_b32_e32 v47, 0xffff, v5
	v_sub_nc_u16 v6, v34, v6
	v_lshrrev_b16 v68, 3, v34
	v_mul_u32_u24_e32 v35, 3, v16
	s_delay_alu instid0(VALU_DEP_4) | instskip(NEXT) | instid1(VALU_DEP_4)
	v_mul_u32_u24_e32 v5, 5, v47
	v_and_b32_e32 v49, 0xffff, v6
	v_lshlrev_b32_e32 v57, 2, v47
	s_delay_alu instid0(VALU_DEP_4) | instskip(NEXT) | instid1(VALU_DEP_4)
	v_lshlrev_b32_e32 v35, 2, v35
	v_lshlrev_b32_e32 v5, 2, v5
	s_delay_alu instid0(VALU_DEP_4)
	v_lshlrev_b32_e32 v63, 2, v49
	s_clause 0x2
	global_load_b128 v[12:15], v5, s[4:5] offset:120
	global_load_b32 v41, v69, s[4:5] offset:136
	global_load_b32 v40, v4, s[4:5] offset:136
	v_mul_u32_u24_e32 v4, 5, v49
	v_add3_u32 v69, 0, v50, v37
	v_add3_u32 v70, 0, v62, v63
	s_delay_alu instid0(VALU_DEP_3)
	v_lshlrev_b32_e32 v20, 2, v4
	s_clause 0x2
	global_load_b32 v39, v5, s[4:5] offset:136
	global_load_b128 v[4:7], v20, s[4:5] offset:120
	global_load_b32 v42, v20, s[4:5] offset:136
	v_add_nc_u32_e32 v20, 0xffffffb8, v16
	s_wait_alu 0xf1ff
	s_delay_alu instid0(VALU_DEP_1) | instskip(SKIP_1) | instid1(VALU_DEP_2)
	v_cndmask_b32_e64 v38, v20, v33, s0
	v_mul_u32_u24_e32 v33, 3, v33
	v_mul_i32_i24_e32 v20, 3, v38
	v_lshlrev_b32_e32 v38, 2, v38
	s_delay_alu instid0(VALU_DEP_2)
	v_lshlrev_b64_e32 v[44:45], 2, v[20:21]
	v_mul_u32_u24_e32 v20, 0x360, v36
	ds_load_2addr_b32 v[36:37], v22 offset1:144
	ds_load_2addr_b32 v[46:47], v26 offset0:64 offset1:208
	ds_load_2addr_b32 v[48:49], v17 offset0:64 offset1:208
	ds_load_2addr_b32 v[50:51], v24 offset1:144
	ds_load_2addr_b32 v[52:53], v25 offset0:64 offset1:208
	ds_load_2addr_b32 v[54:55], v23 offset1:144
	v_add3_u32 v20, 0, v20, v43
	v_add3_u32 v43, 0, v56, v57
	ds_load_2addr_b32 v[56:57], v27 offset0:32 offset1:176
	ds_load_2addr_b32 v[58:59], v29 offset0:96 offset1:240
	;; [unrolled: 1-line block ×3, first 2 shown]
	ds_load_u16 v71, v22 offset:9218
	ds_load_2addr_b32 v[62:63], v30 offset0:96 offset1:240
	ds_load_2addr_b32 v[64:65], v32 offset0:32 offset1:176
	;; [unrolled: 1-line block ×3, first 2 shown]
	global_wb scope:SCOPE_SE
	s_wait_loadcnt_dscnt 0x0
	s_barrier_signal -1
	s_barrier_wait -1
	global_inv scope:SCOPE_SE
	v_lshrrev_b32_e32 v84, 16, v48
	v_lshrrev_b32_e32 v75, 16, v49
	;; [unrolled: 1-line block ×18, first 2 shown]
	s_delay_alu instid0(VALU_DEP_4) | instskip(SKIP_1) | instid1(VALU_DEP_4)
	v_mul_f16_e32 v88, v83, v48
	v_mul_f16_e32 v83, v83, v84
	;; [unrolled: 1-line block ×4, first 2 shown]
	s_delay_alu instid0(VALU_DEP_4)
	v_fmac_f16_e32 v88, v0, v84
	v_mul_f16_e32 v84, v89, v52
	v_mul_f16_e32 v89, v89, v87
	v_fmac_f16_e32 v91, v1, v85
	v_mul_f16_e32 v85, v90, v54
	v_mul_f16_e32 v90, v71, v90
	v_fmac_f16_e32 v84, v2, v87
	v_lshrrev_b32_e32 v87, 16, v8
	v_fma_f16 v0, v0, v48, -v83
	v_fma_f16 v2, v2, v52, -v89
	v_lshrrev_b32_e32 v52, 16, v10
	v_fmac_f16_e32 v85, v71, v3
	v_mul_f16_e32 v48, v75, v87
	v_lshrrev_b32_e32 v71, 16, v9
	v_fma_f16 v1, v1, v50, -v86
	v_fma_f16 v3, v3, v54, -v90
	v_mul_f16_e32 v54, v49, v87
	v_fma_f16 v48, v49, v8, -v48
	v_lshrrev_b32_e32 v49, 16, v11
	v_mul_f16_e32 v86, v77, v52
	v_mul_f16_e32 v52, v53, v52
	;; [unrolled: 1-line block ×5, first 2 shown]
	v_fma_f16 v53, v53, v10, -v86
	v_mul_f16_e32 v49, v55, v49
	v_fmac_f16_e32 v52, v77, v10
	v_lshrrev_b32_e32 v10, 16, v13
	v_fma_f16 v51, v51, v9, -v83
	v_fmac_f16_e32 v71, v76, v9
	v_lshrrev_b32_e32 v9, 16, v12
	v_fmac_f16_e32 v49, v78, v11
	v_lshrrev_b32_e32 v77, 16, v15
	v_mul_f16_e32 v78, v60, v10
	v_lshrrev_b32_e32 v50, 16, v62
	v_lshrrev_b32_e32 v83, 16, v64
	v_fmac_f16_e32 v54, v75, v8
	v_mul_f16_e32 v75, v58, v9
	v_lshrrev_b32_e32 v76, 16, v14
	v_mul_f16_e32 v10, v82, v10
	v_fmac_f16_e32 v78, v82, v13
	v_mul_f16_e32 v82, v64, v77
	v_mul_f16_e32 v9, v81, v9
	v_fmac_f16_e32 v75, v81, v12
	v_mul_f16_e32 v81, v62, v76
	v_mul_f16_e32 v76, v50, v76
	;; [unrolled: 1-line block ×3, first 2 shown]
	v_fmac_f16_e32 v82, v83, v15
	v_lshrrev_b32_e32 v83, 16, v40
	v_fma_f16 v55, v55, v11, -v87
	v_lshrrev_b32_e32 v87, 16, v59
	v_fmac_f16_e32 v81, v50, v14
	v_lshrrev_b32_e32 v50, 16, v41
	v_fma_f16 v9, v58, v12, -v9
	v_fma_f16 v10, v60, v13, -v10
	;; [unrolled: 1-line block ×3, first 2 shown]
	v_mul_f16_e32 v60, v79, v83
	v_lshrrev_b32_e32 v62, 16, v4
	v_lshrrev_b32_e32 v86, 16, v66
	v_fma_f16 v13, v64, v15, -v77
	v_mul_f16_e32 v14, v46, v50
	v_lshrrev_b32_e32 v58, 16, v39
	v_mul_f16_e32 v50, v73, v50
	v_mul_f16_e32 v64, v47, v83
	v_fma_f16 v47, v47, v40, -v60
	v_mul_f16_e32 v60, v87, v62
	v_lshrrev_b32_e32 v90, 16, v61
	v_lshrrev_b32_e32 v8, 16, v63
	;; [unrolled: 1-line block ×4, first 2 shown]
	v_fmac_f16_e32 v14, v73, v41
	v_fma_f16 v41, v46, v41, -v50
	v_lshrrev_b32_e32 v46, 16, v5
	v_lshrrev_b32_e32 v50, 16, v6
	v_fmac_f16_e32 v64, v79, v40
	v_lshrrev_b32_e32 v40, 16, v7
	v_mul_f16_e32 v73, v66, v58
	v_mul_f16_e32 v62, v59, v62
	v_fma_f16 v59, v59, v4, -v60
	v_lshrrev_b32_e32 v60, 16, v42
	v_mul_f16_e32 v58, v86, v58
	v_mul_f16_e32 v76, v90, v46
	;; [unrolled: 1-line block ×3, first 2 shown]
	v_fmac_f16_e32 v73, v86, v39
	v_mul_f16_e32 v77, v8, v50
	v_mul_f16_e32 v50, v63, v50
	v_fma_f16 v39, v66, v39, -v58
	v_mul_f16_e32 v58, v11, v40
	v_mul_f16_e32 v40, v65, v40
	v_fmac_f16_e32 v62, v87, v4
	v_mul_f16_e32 v4, v15, v60
	v_mul_f16_e32 v60, v67, v60
	v_lshrrev_b32_e32 v89, 16, v57
	v_fma_f16 v61, v61, v5, -v76
	v_fmac_f16_e32 v46, v90, v5
	v_fma_f16 v5, v63, v6, -v77
	v_fmac_f16_e32 v50, v8, v6
	;; [unrolled: 2-line block ×4, first 2 shown]
	v_add_f16_e32 v8, v1, v3
	v_add_f16_e32 v15, v72, v91
	;; [unrolled: 1-line block ×4, first 2 shown]
	v_sub_f16_e32 v65, v84, v14
	v_add_f16_e32 v66, v88, v84
	v_add_f16_e32 v67, v84, v14
	;; [unrolled: 1-line block ×3, first 2 shown]
	v_sub_f16_e32 v79, v71, v49
	v_add_f16_e32 v83, v74, v71
	v_add_f16_e32 v71, v71, v49
	;; [unrolled: 1-line block ×4, first 2 shown]
	v_sub_f16_e32 v87, v52, v64
	v_add_f16_e32 v90, v54, v52
	v_add_f16_e32 v52, v52, v64
	;; [unrolled: 1-line block ×4, first 2 shown]
	v_sub_f16_e32 v11, v91, v85
	v_sub_f16_e32 v1, v1, v3
	;; [unrolled: 1-line block ×3, first 2 shown]
	v_add_f16_e32 v77, v51, v55
	v_sub_f16_e32 v51, v51, v55
	v_sub_f16_e32 v53, v53, v47
	v_add_f16_e32 v15, v15, v85
	v_sub_f16_e32 v85, v78, v82
	v_fmac_f16_e32 v72, -0.5, v42
	v_add_f16_e32 v42, v80, v78
	v_add_f16_e32 v78, v78, v82
	v_fmac_f16_e32 v0, -0.5, v63
	v_add_f16_e32 v63, v12, v39
	v_add_f16_e32 v14, v66, v14
	v_sub_f16_e32 v66, v81, v73
	v_fmac_f16_e32 v88, -0.5, v67
	v_add_f16_e32 v67, v75, v81
	v_add_f16_e32 v81, v81, v73
	;; [unrolled: 1-line block ×5, first 2 shown]
	v_sub_f16_e32 v83, v46, v40
	v_fmac_f16_e32 v74, -0.5, v71
	v_add_f16_e32 v71, v89, v46
	v_add_f16_e32 v46, v46, v40
	v_add_f16_e32 v47, v84, v47
	v_add_f16_e32 v84, v59, v5
	v_fmac_f16_e32 v48, -0.5, v86
	v_add_f16_e32 v86, v5, v4
	v_add_f16_e32 v64, v90, v64
	v_sub_f16_e32 v90, v50, v60
	v_fmac_f16_e32 v54, -0.5, v52
	v_add_f16_e32 v52, v62, v50
	v_add_f16_e32 v50, v50, v60
	v_fma_f16 v8, -0.5, v8, v36
	v_add_f16_e32 v3, v7, v3
	v_add_f16_e32 v41, v58, v41
	;; [unrolled: 1-line block ×5, first 2 shown]
	v_sub_f16_e32 v10, v10, v13
	v_sub_f16_e32 v12, v12, v39
	v_fmac_f16_e32 v37, -0.5, v77
	v_add_f16_e32 v77, v61, v6
	v_sub_f16_e32 v61, v61, v6
	v_sub_f16_e32 v5, v5, v4
	v_add_f16_e32 v36, v42, v82
	v_fmac_f16_e32 v80, -0.5, v78
	v_fmac_f16_e32 v9, -0.5, v63
	v_add_f16_e32 v42, v67, v73
	v_fmac_f16_e32 v75, -0.5, v81
	v_add_f16_e32 v6, v76, v6
	v_add_f16_e32 v40, v71, v40
	v_fmac_f16_e32 v89, -0.5, v46
	v_add_f16_e32 v4, v84, v4
	v_fmac_f16_e32 v59, -0.5, v86
	;; [unrolled: 2-line block ×3, first 2 shown]
	v_fmamk_f16 v50, v11, 0x3aee, v8
	v_fmac_f16_e32 v8, 0xbaee, v11
	v_fmamk_f16 v11, v1, 0xbaee, v72
	v_fmac_f16_e32 v72, 0x3aee, v1
	v_fmamk_f16 v1, v65, 0x3aee, v0
	v_fmamk_f16 v52, v2, 0xbaee, v88
	v_fmac_f16_e32 v0, 0xbaee, v65
	v_fmac_f16_e32 v88, 0x3aee, v2
	v_add_f16_e32 v39, v58, v39
	v_add_f16_e32 v2, v3, v41
	v_sub_f16_e32 v3, v3, v41
	v_fmamk_f16 v41, v51, 0xbaee, v74
	v_fmac_f16_e32 v74, 0x3aee, v51
	v_fmamk_f16 v51, v87, 0x3aee, v48
	v_fmamk_f16 v58, v53, 0xbaee, v54
	v_fmac_f16_e32 v48, 0xbaee, v87
	v_fmac_f16_e32 v54, 0x3aee, v53
	v_add_f16_e32 v13, v91, v13
	v_fma_f16 v7, -0.5, v7, v56
	v_fmac_f16_e32 v57, -0.5, v77
	v_add_f16_e32 v56, v15, v14
	v_add_f16_e32 v60, v49, v64
	v_sub_f16_e32 v49, v49, v64
	v_fmamk_f16 v63, v10, 0xbaee, v80
	v_fmac_f16_e32 v80, 0x3aee, v10
	v_fmamk_f16 v10, v66, 0x3aee, v9
	v_fmac_f16_e32 v9, 0xbaee, v66
	;; [unrolled: 2-line block ×3, first 2 shown]
	v_add_f16_e32 v65, v36, v42
	v_sub_f16_e32 v36, v36, v42
	v_fmamk_f16 v42, v61, 0xbaee, v89
	v_fmac_f16_e32 v89, 0x3aee, v61
	v_fmamk_f16 v61, v90, 0x3aee, v59
	v_fmac_f16_e32 v59, 0xbaee, v90
	;; [unrolled: 2-line block ×3, first 2 shown]
	v_add_f16_e32 v5, v6, v4
	v_add_f16_e32 v67, v40, v46
	v_sub_f16_e32 v4, v6, v4
	v_sub_f16_e32 v6, v40, v46
	v_mul_f16_e32 v40, 0x3aee, v52
	v_mul_f16_e32 v71, 0xbaee, v1
	v_mul_f16_e32 v46, -0.5, v0
	v_mul_f16_e32 v73, -0.5, v88
	v_mul_f16_e32 v76, 0x3aee, v58
	v_mul_f16_e32 v78, 0xbaee, v51
	v_sub_f16_e32 v14, v15, v14
	v_fmamk_f16 v15, v79, 0x3aee, v37
	v_fmac_f16_e32 v37, 0xbaee, v79
	v_mul_f16_e32 v77, -0.5, v48
	v_mul_f16_e32 v79, -0.5, v54
	v_add_f16_e32 v53, v55, v47
	v_sub_f16_e32 v47, v55, v47
	v_fmamk_f16 v55, v85, 0x3aee, v7
	v_fmac_f16_e32 v7, 0xbaee, v85
	v_add_f16_e32 v12, v13, v39
	v_sub_f16_e32 v13, v13, v39
	v_fmamk_f16 v39, v83, 0x3aee, v57
	v_fmac_f16_e32 v57, 0xbaee, v83
	v_mul_f16_e32 v81, 0x3aee, v64
	v_mul_f16_e32 v82, -0.5, v9
	v_mul_f16_e32 v83, 0xbaee, v10
	v_mul_f16_e32 v84, -0.5, v75
	;; [unrolled: 2-line block ×3, first 2 shown]
	v_mul_f16_e32 v87, 0xbaee, v61
	v_pack_b32_f16 v2, v2, v56
	v_mul_f16_e32 v56, -0.5, v62
	v_fmac_f16_e32 v40, 0.5, v1
	v_fmac_f16_e32 v71, 0.5, v52
	v_fmac_f16_e32 v46, 0x3aee, v88
	v_fmac_f16_e32 v73, 0xbaee, v0
	v_fmac_f16_e32 v76, 0.5, v51
	v_fmac_f16_e32 v78, 0.5, v58
	v_fmac_f16_e32 v77, 0x3aee, v54
	v_fmac_f16_e32 v79, 0xbaee, v48
	v_pack_b32_f16 v4, v4, v6
	v_fmac_f16_e32 v81, 0.5, v10
	v_fmac_f16_e32 v82, 0x3aee, v75
	v_fmac_f16_e32 v83, 0.5, v64
	v_fmac_f16_e32 v84, 0xbaee, v9
	;; [unrolled: 2-line block ×4, first 2 shown]
	v_add_f16_e32 v0, v50, v40
	v_add_f16_e32 v6, v11, v71
	;; [unrolled: 1-line block ×4, first 2 shown]
	v_pack_b32_f16 v13, v13, v36
	v_sub_f16_e32 v10, v50, v40
	v_sub_f16_e32 v8, v8, v46
	;; [unrolled: 1-line block ×4, first 2 shown]
	v_add_f16_e32 v40, v15, v76
	v_add_f16_e32 v48, v41, v78
	v_pack_b32_f16 v47, v47, v49
	v_add_f16_e32 v46, v37, v77
	v_add_f16_e32 v49, v74, v79
	v_pack_b32_f16 v3, v3, v14
	v_pack_b32_f16 v14, v53, v60
	v_sub_f16_e32 v15, v15, v76
	v_sub_f16_e32 v37, v37, v77
	;; [unrolled: 1-line block ×4, first 2 shown]
	v_add_f16_e32 v51, v55, v81
	v_add_f16_e32 v52, v7, v82
	;; [unrolled: 1-line block ×4, first 2 shown]
	v_sub_f16_e32 v55, v55, v81
	v_sub_f16_e32 v7, v7, v82
	;; [unrolled: 1-line block ×4, first 2 shown]
	v_add_f16_e32 v60, v39, v85
	v_add_f16_e32 v61, v57, v86
	;; [unrolled: 1-line block ×4, first 2 shown]
	v_sub_f16_e32 v39, v39, v85
	v_sub_f16_e32 v57, v57, v86
	;; [unrolled: 1-line block ×4, first 2 shown]
	v_pack_b32_f16 v0, v0, v6
	v_pack_b32_f16 v1, v1, v9
	;; [unrolled: 1-line block ×18, first 2 shown]
	ds_store_2addr_b32 v69, v2, v0 offset1:36
	ds_store_2addr_b32 v69, v1, v3 offset0:72 offset1:108
	ds_store_2addr_b32 v69, v6, v8 offset0:144 offset1:180
	ds_store_2addr_b32 v20, v14, v9 offset1:36
	ds_store_2addr_b32 v20, v10, v47 offset0:72 offset1:108
	ds_store_2addr_b32 v20, v11, v15 offset0:144 offset1:180
	;; [unrolled: 3-line block ×4, first 2 shown]
	v_and_b32_e32 v6, 0xffff, v68
	v_add_nc_u16 v12, v16, 0x240
	v_add_nc_u16 v13, v16, 0x2d0
	global_wb scope:SCOPE_SE
	s_wait_dscnt 0x0
	s_barrier_signal -1
	v_mul_u32_u24_e32 v6, 0x12f7, v6
	v_lshrrev_b16 v7, 3, v12
	s_barrier_wait -1
	global_inv scope:SCOPE_SE
	global_load_b96 v[0:2], v35, s[4:5] offset:840
	v_lshrrev_b32_e32 v6, 17, v6
	v_lshrrev_b16 v8, 3, v13
	v_and_b32_e32 v7, 0xffff, v7
	v_add_co_u32 v3, s0, s4, v44
	s_wait_alu 0xf1ff
	v_add_co_ci_u32_e64 v4, s0, s5, v45, s0
	v_mul_lo_u16 v6, 0xd8, v6
	v_and_b32_e32 v9, 0xffff, v8
	v_mul_u32_u24_e32 v10, 0x12f7, v7
	global_load_b96 v[3:5], v[3:4], off offset:840
	v_cmp_lt_u32_e64 s0, 0x47, v16
	v_sub_nc_u16 v6, v34, v6
	v_mul_u32_u24_e32 v9, 0x12f7, v9
	v_lshrrev_b32_e32 v20, 17, v10
	v_lshlrev_b32_e32 v65, 2, v33
	v_add_nc_u32_e32 v62, 0x680, v22
	v_and_b32_e32 v15, 0xffff, v6
	v_lshrrev_b32_e32 v14, 17, v9
	v_mul_lo_u16 v34, 0xd8, v20
	global_load_b96 v[6:8], v35, s[4:5] offset:1704
	v_mul_u32_u24_e32 v20, 0xd80, v20
	v_mul_u32_u24_e32 v11, 3, v15
	v_mul_lo_u16 v14, 0xd8, v14
	v_sub_nc_u16 v12, v12, v34
	v_lshl_add_u32 v15, v15, 2, 0
	v_add_nc_u32_e32 v63, 0xe80, v22
	v_lshlrev_b32_e32 v10, 2, v11
	v_add_nc_u32_e32 v64, 0x1500, v22
	v_and_b32_e32 v34, 0xffff, v12
	v_sub_nc_u16 v12, v13, v14
	v_add_nc_u32_e32 v67, 0x1b00, v15
	global_load_b96 v[9:11], v10, s[4:5] offset:840
	v_add_nc_u32_e32 v15, 0x2180, v15
	v_mul_u32_u24_e32 v13, 3, v34
	v_and_b32_e32 v36, 0xffff, v12
	v_lshlrev_b32_e32 v50, 2, v34
	s_delay_alu instid0(VALU_DEP_3) | instskip(NEXT) | instid1(VALU_DEP_3)
	v_lshlrev_b32_e32 v12, 2, v13
	v_mul_u32_u24_e32 v37, 3, v36
	v_lshl_add_u32 v51, v36, 2, 0
	s_delay_alu instid0(VALU_DEP_4)
	v_add3_u32 v20, 0, v20, v50
	global_load_b96 v[12:14], v12, s[4:5] offset:840
	v_lshlrev_b32_e32 v37, 2, v37
	v_add_nc_u32_e32 v68, 0x2800, v51
	v_add_nc_u32_e32 v69, 0x2f00, v51
	;; [unrolled: 1-line block ×3, first 2 shown]
	global_load_b96 v[39:41], v37, s[4:5] offset:840
	s_wait_alu 0xf1ff
	v_cndmask_b32_e64 v37, 0, 0xd80, s0
	s_delay_alu instid0(VALU_DEP_1)
	v_add3_u32 v38, 0, v37, v38
	ds_load_2addr_b32 v[33:34], v29 offset0:96 offset1:240
	ds_load_2addr_b32 v[36:37], v25 offset0:64 offset1:208
	;; [unrolled: 1-line block ×3, first 2 shown]
	ds_load_2addr_b32 v[44:45], v24 offset1:144
	ds_load_2addr_b32 v[46:47], v30 offset0:96 offset1:240
	ds_load_2addr_b32 v[48:49], v26 offset0:64 offset1:208
	;; [unrolled: 1-line block ×3, first 2 shown]
	ds_load_2addr_b32 v[52:53], v23 offset1:144
	ds_load_2addr_b32 v[54:55], v31 offset0:96 offset1:240
	ds_load_2addr_b32 v[56:57], v22 offset1:144
	ds_load_2addr_b32 v[58:59], v27 offset0:32 offset1:176
	ds_load_2addr_b32 v[60:61], v17 offset0:64 offset1:208
	global_wb scope:SCOPE_SE
	s_wait_loadcnt_dscnt 0x0
	s_barrier_signal -1
	s_barrier_wait -1
	global_inv scope:SCOPE_SE
	v_add_nc_u32_e32 v66, 0x680, v38
	v_lshrrev_b32_e32 v84, 16, v33
	v_lshrrev_b32_e32 v85, 16, v36
	;; [unrolled: 1-line block ×18, first 2 shown]
	s_delay_alu instid0(VALU_DEP_3) | instskip(NEXT) | instid1(VALU_DEP_3)
	v_mul_f16_e32 v88, v83, v33
	v_mul_f16_e32 v91, v86, v36
	;; [unrolled: 1-line block ×4, first 2 shown]
	s_delay_alu instid0(VALU_DEP_4)
	v_fmac_f16_e32 v88, v0, v84
	v_lshrrev_b32_e32 v90, 16, v3
	v_mul_f16_e32 v84, v89, v42
	v_fmac_f16_e32 v91, v1, v85
	v_lshrrev_b32_e32 v85, 16, v4
	v_mul_f16_e32 v89, v89, v87
	v_fma_f16 v0, v0, v33, -v83
	v_fmac_f16_e32 v84, v2, v87
	v_mul_f16_e32 v87, v71, v90
	v_fma_f16 v1, v1, v36, -v86
	v_lshrrev_b32_e32 v36, 16, v5
	v_mul_f16_e32 v83, v72, v85
	v_mul_f16_e32 v85, v37, v85
	v_fma_f16 v2, v2, v42, -v89
	v_mul_f16_e32 v42, v34, v90
	v_fma_f16 v34, v34, v3, -v87
	;; [unrolled: 2-line block ×3, first 2 shown]
	v_mul_f16_e32 v36, v43, v36
	v_lshrrev_b32_e32 v90, 16, v6
	v_fmac_f16_e32 v85, v72, v4
	v_lshrrev_b32_e32 v4, 16, v7
	v_fma_f16 v43, v43, v5, -v87
	v_fmac_f16_e32 v42, v71, v3
	v_fmac_f16_e32 v36, v73, v5
	v_mul_f16_e32 v5, v44, v90
	v_lshrrev_b32_e32 v71, 16, v8
	v_mul_f16_e32 v73, v46, v4
	v_mul_f16_e32 v90, v74, v90
	v_lshrrev_b32_e32 v72, 16, v9
	v_fmac_f16_e32 v5, v74, v6
	v_mul_f16_e32 v74, v48, v71
	v_mul_f16_e32 v4, v75, v4
	v_fmac_f16_e32 v73, v75, v7
	v_lshrrev_b32_e32 v75, 16, v10
	v_mul_f16_e32 v71, v76, v71
	v_fma_f16 v6, v44, v6, -v90
	v_lshrrev_b32_e32 v44, 16, v11
	v_fmac_f16_e32 v74, v76, v8
	v_mul_f16_e32 v76, v77, v72
	v_fma_f16 v4, v46, v7, -v4
	v_fma_f16 v7, v48, v8, -v71
	v_mul_f16_e32 v46, v45, v72
	v_mul_f16_e32 v48, v78, v75
	;; [unrolled: 1-line block ×4, first 2 shown]
	v_fma_f16 v45, v45, v9, -v76
	v_lshrrev_b32_e32 v76, 16, v12
	v_mul_f16_e32 v44, v49, v44
	v_lshrrev_b32_e32 v90, 16, v14
	v_fma_f16 v49, v49, v11, -v75
	v_lshrrev_b32_e32 v75, 16, v13
	v_lshrrev_b32_e32 v33, 16, v51
	;; [unrolled: 1-line block ×4, first 2 shown]
	v_fma_f16 v47, v47, v10, -v48
	v_fmac_f16_e32 v46, v77, v9
	v_lshrrev_b32_e32 v9, 16, v39
	v_fmac_f16_e32 v72, v78, v10
	v_lshrrev_b32_e32 v10, 16, v40
	;; [unrolled: 2-line block ×3, first 2 shown]
	v_mul_f16_e32 v77, v80, v76
	v_mul_f16_e32 v76, v50, v76
	v_mul_f16_e32 v78, v81, v75
	v_mul_f16_e32 v75, v52, v75
	v_mul_f16_e32 v79, v82, v90
	v_mul_f16_e32 v90, v54, v90
	v_lshrrev_b32_e32 v89, 16, v56
	v_fmac_f16_e32 v76, v80, v12
	v_mul_f16_e32 v80, v33, v9
	v_mul_f16_e32 v9, v51, v9
	v_fmac_f16_e32 v75, v81, v13
	v_mul_f16_e32 v81, v86, v10
	v_mul_f16_e32 v10, v53, v10
	;; [unrolled: 3-line block ×3, first 2 shown]
	v_lshrrev_b32_e32 v87, 16, v57
	v_lshrrev_b32_e32 v3, 16, v58
	;; [unrolled: 1-line block ×4, first 2 shown]
	v_fma_f16 v12, v50, v12, -v77
	v_fma_f16 v13, v52, v13, -v78
	;; [unrolled: 1-line block ×3, first 2 shown]
	v_lshrrev_b32_e32 v48, 16, v61
	v_fma_f16 v50, v51, v39, -v80
	v_fmac_f16_e32 v9, v33, v39
	v_fma_f16 v33, v53, v40, -v81
	v_fmac_f16_e32 v10, v86, v40
	;; [unrolled: 2-line block ×3, first 2 shown]
	v_sub_f16_e32 v1, v56, v1
	v_sub_f16_e32 v40, v89, v91
	;; [unrolled: 1-line block ×24, first 2 shown]
	v_fma_f16 v56, v56, 2.0, -v1
	v_fma_f16 v73, v89, 2.0, -v40
	;; [unrolled: 1-line block ×20, first 2 shown]
	v_sub_f16_e32 v41, v1, v41
	v_add_f16_e32 v2, v40, v2
	v_sub_f16_e32 v36, v37, v36
	v_add_f16_e32 v43, v51, v43
	v_fma_f16 v61, v61, 2.0, -v33
	v_fma_f16 v48, v48, 2.0, -v10
	;; [unrolled: 1-line block ×4, first 2 shown]
	v_sub_f16_e32 v11, v33, v11
	v_add_f16_e32 v39, v10, v39
	v_sub_f16_e32 v0, v56, v0
	v_sub_f16_e32 v74, v73, v74
	v_sub_f16_e32 v44, v47, v44
	v_add_f16_e32 v49, v54, v49
	v_sub_f16_e32 v34, v57, v34
	v_sub_f16_e32 v42, v75, v42
	;; [unrolled: 4-line block ×3, first 2 shown]
	v_sub_f16_e32 v45, v59, v45
	v_sub_f16_e32 v46, v8, v46
	;; [unrolled: 1-line block ×5, first 2 shown]
	v_add_f16_e32 v14, v55, v14
	v_fma_f16 v1, v1, 2.0, -v41
	v_fma_f16 v40, v40, 2.0, -v2
	;; [unrolled: 1-line block ×4, first 2 shown]
	v_sub_f16_e32 v50, v61, v50
	v_sub_f16_e32 v9, v48, v9
	v_fma_f16 v33, v33, 2.0, -v11
	v_fma_f16 v10, v10, 2.0, -v39
	v_pack_b32_f16 v36, v36, v43
	v_pack_b32_f16 v11, v11, v39
	v_fma_f16 v39, v56, 2.0, -v0
	v_fma_f16 v43, v73, 2.0, -v74
	;; [unrolled: 1-line block ×4, first 2 shown]
	v_pack_b32_f16 v2, v41, v2
	v_pack_b32_f16 v41, v44, v49
	v_fma_f16 v44, v57, 2.0, -v34
	v_fma_f16 v49, v75, 2.0, -v42
	v_pack_b32_f16 v0, v0, v74
	v_fma_f16 v4, v4, 2.0, -v53
	v_fma_f16 v52, v52, 2.0, -v7
	;; [unrolled: 3-line block ×3, first 2 shown]
	v_fma_f16 v56, v59, 2.0, -v45
	v_fma_f16 v8, v8, 2.0, -v46
	;; [unrolled: 1-line block ×8, first 2 shown]
	v_pack_b32_f16 v1, v1, v40
	v_pack_b32_f16 v10, v33, v10
	;; [unrolled: 1-line block ×4, first 2 shown]
	ds_store_2addr_b32 v62, v0, v2 offset0:16 offset1:232
	v_pack_b32_f16 v0, v44, v49
	v_pack_b32_f16 v34, v34, v42
	;; [unrolled: 1-line block ×14, first 2 shown]
	ds_store_2addr_b32 v22, v33, v1 offset1:216
	ds_store_2addr_b32 v38, v0, v37 offset1:216
	ds_store_2addr_b32 v66, v34, v36 offset0:16 offset1:232
	ds_store_2addr_b32 v63, v2, v4 offset0:8 offset1:224
	;; [unrolled: 1-line block ×3, first 2 shown]
	ds_store_2addr_b32 v67, v3, v6 offset1:216
	ds_store_2addr_b32 v15, v40, v41 offset0:16 offset1:232
	ds_store_2addr_b32 v20, v8, v13 offset1:216
	ds_store_2addr_b32 v70, v12, v14 offset0:16 offset1:232
	ds_store_2addr_b32 v68, v39, v10 offset0:32 offset1:248
	;; [unrolled: 1-line block ×3, first 2 shown]
	global_wb scope:SCOPE_SE
	s_wait_dscnt 0x0
	s_barrier_signal -1
	s_barrier_wait -1
	global_inv scope:SCOPE_SE
	s_clause 0x3
	global_load_b96 v[0:2], v35, s[4:5] offset:3432
	global_load_b96 v[3:5], v65, s[4:5] offset:3432
	;; [unrolled: 1-line block ×4, first 2 shown]
	v_add_nc_u32_e32 v12, 0x1440, v65
	v_add_nc_u32_e32 v15, 0x1b00, v65
	s_clause 0x1
	global_load_b96 v[12:14], v12, s[4:5] offset:3432
	global_load_b96 v[33:35], v15, s[4:5] offset:3432
	ds_load_2addr_b32 v[36:37], v22 offset1:144
	ds_load_2addr_b32 v[38:39], v29 offset0:96 offset1:240
	ds_load_2addr_b32 v[40:41], v25 offset0:64 offset1:208
	;; [unrolled: 1-line block ×4, first 2 shown]
	ds_load_2addr_b32 v[46:47], v24 offset1:144
	ds_load_2addr_b32 v[48:49], v30 offset0:96 offset1:240
	ds_load_2addr_b32 v[50:51], v26 offset0:64 offset1:208
	;; [unrolled: 1-line block ×4, first 2 shown]
	ds_load_2addr_b32 v[56:57], v23 offset1:144
	ds_load_2addr_b32 v[58:59], v31 offset0:96 offset1:240
	global_wb scope:SCOPE_SE
	s_wait_loadcnt_dscnt 0x0
	s_barrier_signal -1
	s_barrier_wait -1
	global_inv scope:SCOPE_SE
	v_lshrrev_b32_e32 v15, 16, v36
	v_lshrrev_b32_e32 v79, 16, v38
	;; [unrolled: 1-line block ×29, first 2 shown]
	v_mul_f16_e32 v88, v82, v38
	v_lshrrev_b32_e32 v87, 16, v5
	v_mul_f16_e32 v91, v83, v40
	v_mul_f16_e32 v82, v82, v79
	;; [unrolled: 1-line block ×3, first 2 shown]
	v_fmac_f16_e32 v88, v0, v79
	v_mul_f16_e32 v79, v84, v42
	v_mul_f16_e32 v84, v84, v81
	v_lshrrev_b32_e32 v89, 16, v6
	v_lshrrev_b32_e32 v90, 16, v7
	v_fmac_f16_e32 v91, v1, v80
	v_fmac_f16_e32 v79, v2, v81
	v_mul_f16_e32 v81, v60, v85
	v_fma_f16 v0, v0, v38, -v82
	v_fma_f16 v1, v1, v40, -v83
	;; [unrolled: 1-line block ×3, first 2 shown]
	v_mul_f16_e32 v42, v39, v85
	v_mul_f16_e32 v82, v61, v86
	;; [unrolled: 1-line block ×4, first 2 shown]
	v_lshrrev_b32_e32 v80, 16, v8
	v_mul_f16_e32 v84, v62, v87
	v_lshrrev_b32_e32 v38, 16, v9
	v_lshrrev_b32_e32 v40, 16, v10
	v_fma_f16 v39, v39, v3, -v81
	v_lshrrev_b32_e32 v81, 16, v11
	v_fmac_f16_e32 v42, v60, v3
	v_fmac_f16_e32 v86, v62, v5
	v_mul_f16_e32 v60, v46, v89
	v_mul_f16_e32 v62, v48, v90
	v_fma_f16 v41, v41, v4, -v82
	v_lshrrev_b32_e32 v82, 16, v12
	v_lshrrev_b32_e32 v85, 16, v13
	v_fma_f16 v43, v43, v5, -v84
	v_lshrrev_b32_e32 v84, 16, v14
	v_lshrrev_b32_e32 v87, 16, v33
	v_lshrrev_b32_e32 v3, 16, v34
	v_fmac_f16_e32 v83, v61, v4
	v_lshrrev_b32_e32 v4, 16, v35
	v_mul_f16_e32 v5, v64, v89
	v_mul_f16_e32 v61, v65, v90
	;; [unrolled: 1-line block ×6, first 2 shown]
	v_fmac_f16_e32 v60, v64, v6
	v_mul_f16_e32 v64, v69, v40
	v_mul_f16_e32 v40, v49, v40
	v_fmac_f16_e32 v62, v65, v7
	v_mul_f16_e32 v65, v70, v81
	v_mul_f16_e32 v81, v51, v81
	;; [unrolled: 3-line block ×3, first 2 shown]
	v_fma_f16 v5, v46, v6, -v5
	v_fma_f16 v6, v48, v7, -v61
	;; [unrolled: 1-line block ×3, first 2 shown]
	v_mul_f16_e32 v8, v73, v85
	v_mul_f16_e32 v46, v56, v85
	;; [unrolled: 1-line block ×10, first 2 shown]
	v_fma_f16 v47, v47, v9, -v90
	v_fmac_f16_e32 v38, v68, v9
	v_fma_f16 v9, v49, v10, -v64
	v_fmac_f16_e32 v40, v69, v10
	;; [unrolled: 2-line block ×9, first 2 shown]
	v_sub_f16_e32 v1, v36, v1
	v_sub_f16_e32 v34, v15, v91
	v_sub_f16_e32 v2, v0, v2
	v_sub_f16_e32 v35, v88, v79
	v_sub_f16_e32 v41, v37, v41
	v_sub_f16_e32 v48, v20, v83
	v_sub_f16_e32 v43, v39, v43
	v_sub_f16_e32 v49, v42, v86
	v_sub_f16_e32 v6, v44, v6
	v_sub_f16_e32 v51, v63, v62
	v_sub_f16_e32 v7, v5, v7
	v_sub_f16_e32 v54, v60, v80
	v_sub_f16_e32 v9, v45, v9
	v_sub_f16_e32 v40, v67, v40
	v_sub_f16_e32 v10, v47, v10
	v_sub_f16_e32 v55, v38, v81
	v_sub_f16_e32 v8, v52, v8
	v_sub_f16_e32 v46, v71, v46
	v_sub_f16_e32 v12, v11, v12
	v_sub_f16_e32 v50, v82, v50
	v_sub_f16_e32 v14, v53, v14
	v_sub_f16_e32 v3, v75, v3
	v_sub_f16_e32 v33, v13, v33
	v_sub_f16_e32 v4, v84, v4
	v_fma_f16 v36, v36, 2.0, -v1
	v_fma_f16 v15, v15, 2.0, -v34
	v_fma_f16 v0, v0, 2.0, -v2
	v_fma_f16 v56, v88, 2.0, -v35
	v_fma_f16 v37, v37, 2.0, -v41
	v_fma_f16 v20, v20, 2.0, -v48
	v_fma_f16 v39, v39, 2.0, -v43
	v_fma_f16 v42, v42, 2.0, -v49
	v_sub_f16_e32 v35, v1, v35
	v_add_f16_e32 v2, v34, v2
	v_sub_f16_e32 v49, v41, v49
	v_add_f16_e32 v43, v48, v43
	v_fma_f16 v44, v44, 2.0, -v6
	v_fma_f16 v57, v63, 2.0, -v51
	v_fma_f16 v5, v5, 2.0, -v7
	v_fma_f16 v58, v60, 2.0, -v54
	v_fma_f16 v45, v45, 2.0, -v9
	v_fma_f16 v59, v67, 2.0, -v40
	v_fma_f16 v47, v47, 2.0, -v10
	v_fma_f16 v38, v38, 2.0, -v55
	v_sub_f16_e32 v54, v6, v54
	v_add_f16_e32 v7, v51, v7
	v_sub_f16_e32 v55, v9, v55
	v_add_f16_e32 v10, v40, v10
	;; [unrolled: 12-line block ×3, first 2 shown]
	v_sub_f16_e32 v0, v36, v0
	v_sub_f16_e32 v56, v15, v56
	;; [unrolled: 1-line block ×4, first 2 shown]
	v_fma_f16 v1, v1, 2.0, -v35
	v_fma_f16 v34, v34, 2.0, -v2
	;; [unrolled: 1-line block ×4, first 2 shown]
	v_sub_f16_e32 v5, v44, v5
	v_sub_f16_e32 v58, v57, v58
	;; [unrolled: 1-line block ×4, first 2 shown]
	v_fma_f16 v6, v6, 2.0, -v54
	v_fma_f16 v51, v51, 2.0, -v7
	;; [unrolled: 1-line block ×4, first 2 shown]
	v_sub_f16_e32 v11, v52, v11
	v_sub_f16_e32 v61, v60, v61
	v_sub_f16_e32 v13, v53, v13
	v_sub_f16_e32 v63, v62, v63
	v_pack_b32_f16 v2, v35, v2
	v_pack_b32_f16 v35, v49, v43
	v_fma_f16 v8, v8, 2.0, -v50
	v_fma_f16 v46, v46, 2.0, -v12
	;; [unrolled: 1-line block ×4, first 2 shown]
	v_pack_b32_f16 v7, v54, v7
	v_pack_b32_f16 v10, v55, v10
	;; [unrolled: 1-line block ×4, first 2 shown]
	v_fma_f16 v33, v36, 2.0, -v0
	v_fma_f16 v15, v15, 2.0, -v56
	;; [unrolled: 1-line block ×8, first 2 shown]
	v_pack_b32_f16 v1, v1, v34
	v_pack_b32_f16 v34, v41, v48
	v_fma_f16 v49, v52, 2.0, -v11
	v_fma_f16 v50, v60, 2.0, -v61
	;; [unrolled: 1-line block ×4, first 2 shown]
	v_pack_b32_f16 v0, v0, v56
	v_pack_b32_f16 v39, v39, v42
	ds_store_2addr_b32 v32, v2, v35 offset0:32 offset1:176
	v_pack_b32_f16 v2, v6, v51
	v_pack_b32_f16 v6, v9, v40
	v_pack_b32_f16 v5, v5, v58
	v_pack_b32_f16 v9, v47, v38
	ds_store_2addr_b32 v26, v7, v10 offset0:64 offset1:208
	v_pack_b32_f16 v7, v8, v46
	v_pack_b32_f16 v3, v14, v3
	;; [unrolled: 5-line block ×3, first 2 shown]
	ds_store_2addr_b32 v29, v1, v34 offset0:96 offset1:240
	ds_store_2addr_b32 v25, v0, v39 offset0:64 offset1:208
	v_pack_b32_f16 v0, v37, v43
	v_pack_b32_f16 v1, v44, v45
	ds_store_2addr_b32 v24, v2, v6 offset1:144
	ds_store_2addr_b32 v30, v5, v9 offset0:96 offset1:240
	v_pack_b32_f16 v2, v49, v50
	v_pack_b32_f16 v5, v52, v53
	ds_store_2addr_b32 v28, v7, v3 offset0:32 offset1:176
	ds_store_2addr_b32 v23, v8, v10 offset1:144
	ds_store_2addr_b32 v22, v4, v11 offset1:144
	ds_store_2addr_b32 v27, v0, v1 offset0:32 offset1:176
	ds_store_2addr_b32 v17, v2, v5 offset0:64 offset1:208
	global_wb scope:SCOPE_SE
	s_wait_dscnt 0x0
	s_barrier_signal -1
	s_barrier_wait -1
	global_inv scope:SCOPE_SE
	s_and_saveexec_b32 s0, vcc_lo
	s_cbranch_execz .LBB0_19
; %bb.18:
	v_dual_mov_b32 v17, v21 :: v_dual_add_nc_u32 v20, 0x90, v16
	v_lshl_add_u32 v30, v16, 2, 0
	v_add_co_u32 v31, vcc_lo, s8, v18
	s_delay_alu instid0(VALU_DEP_3) | instskip(NEXT) | instid1(VALU_DEP_4)
	v_lshlrev_b64_e32 v[2:3], 2, v[16:17]
	v_lshlrev_b64_e32 v[4:5], 2, v[20:21]
	v_add_nc_u32_e32 v20, 0x120, v16
	s_wait_alu 0xfffd
	v_add_co_ci_u32_e32 v32, vcc_lo, s9, v19, vcc_lo
	v_add_nc_u32_e32 v8, 0x400, v30
	v_add_co_u32 v2, vcc_lo, v31, v2
	v_lshlrev_b64_e32 v[6:7], 2, v[20:21]
	v_add_nc_u32_e32 v20, 0x1b0, v16
	s_wait_alu 0xfffd
	v_add_co_ci_u32_e32 v3, vcc_lo, v32, v3, vcc_lo
	v_add_nc_u32_e32 v14, 0x800, v30
	ds_load_2addr_b32 v[0:1], v30 offset1:144
	v_lshlrev_b64_e32 v[10:11], 2, v[20:21]
	v_add_nc_u32_e32 v20, 0x240, v16
	v_add_co_u32 v4, vcc_lo, v31, v4
	v_add_nc_u32_e32 v19, 0xc00, v30
	s_wait_alu 0xfffd
	v_add_co_ci_u32_e32 v5, vcc_lo, v32, v5, vcc_lo
	v_lshlrev_b64_e32 v[12:13], 2, v[20:21]
	v_add_nc_u32_e32 v20, 0x2d0, v16
	ds_load_2addr_b32 v[8:9], v8 offset0:32 offset1:176
	v_add_co_u32 v6, vcc_lo, v31, v6
	ds_load_2addr_b32 v[14:15], v14 offset0:64 offset1:208
	v_lshlrev_b64_e32 v[17:18], 2, v[20:21]
	v_add_nc_u32_e32 v20, 0x360, v16
	s_wait_alu 0xfffd
	v_add_co_ci_u32_e32 v7, vcc_lo, v32, v7, vcc_lo
	v_add_co_u32 v10, vcc_lo, v31, v10
	s_delay_alu instid0(VALU_DEP_3)
	v_lshlrev_b64_e32 v[22:23], 2, v[20:21]
	v_add_nc_u32_e32 v20, 0x3f0, v16
	ds_load_2addr_b32 v[24:25], v19 offset0:96 offset1:240
	s_wait_alu 0xfffd
	v_add_co_ci_u32_e32 v11, vcc_lo, v32, v11, vcc_lo
	v_add_co_u32 v12, vcc_lo, v31, v12
	v_lshlrev_b64_e32 v[26:27], 2, v[20:21]
	v_add_nc_u32_e32 v20, 0x480, v16
	s_wait_alu 0xfffd
	v_add_co_ci_u32_e32 v13, vcc_lo, v32, v13, vcc_lo
	v_add_co_u32 v17, vcc_lo, v31, v17
	s_wait_alu 0xfffd
	v_add_co_ci_u32_e32 v18, vcc_lo, v32, v18, vcc_lo
	v_add_co_u32 v22, vcc_lo, v31, v22
	v_lshlrev_b64_e32 v[28:29], 2, v[20:21]
	v_add_nc_u32_e32 v20, 0x510, v16
	s_wait_alu 0xfffd
	v_add_co_ci_u32_e32 v23, vcc_lo, v32, v23, vcc_lo
	v_add_co_u32 v26, vcc_lo, v31, v26
	s_wait_alu 0xfffd
	v_add_co_ci_u32_e32 v27, vcc_lo, v32, v27, vcc_lo
	s_wait_dscnt 0x3
	s_clause 0x1
	global_store_b32 v[2:3], v0, off
	global_store_b32 v[4:5], v1, off
	s_wait_dscnt 0x2
	s_clause 0x1
	global_store_b32 v[6:7], v8, off
	global_store_b32 v[10:11], v9, off
	;; [unrolled: 4-line block ×4, first 2 shown]
	v_lshlrev_b64_e32 v[2:3], 2, v[20:21]
	v_add_nc_u32_e32 v20, 0x5a0, v16
	v_add_nc_u32_e32 v19, 0x1200, v30
	v_add_co_u32 v4, vcc_lo, v31, v28
	v_add_nc_u32_e32 v8, 0x1600, v30
	s_delay_alu instid0(VALU_DEP_4)
	v_lshlrev_b64_e32 v[6:7], 2, v[20:21]
	v_add_nc_u32_e32 v20, 0x630, v16
	s_wait_alu 0xfffd
	v_add_co_ci_u32_e32 v5, vcc_lo, v32, v29, vcc_lo
	v_add_nc_u32_e32 v14, 0x1a00, v30
	ds_load_2addr_b32 v[0:1], v19 offset1:144
	v_lshlrev_b64_e32 v[10:11], 2, v[20:21]
	v_add_nc_u32_e32 v20, 0x6c0, v16
	v_add_co_u32 v2, vcc_lo, v31, v2
	v_add_nc_u32_e32 v19, 0x1e00, v30
	s_wait_alu 0xfffd
	v_add_co_ci_u32_e32 v3, vcc_lo, v32, v3, vcc_lo
	v_lshlrev_b64_e32 v[12:13], 2, v[20:21]
	v_add_nc_u32_e32 v20, 0x750, v16
	ds_load_2addr_b32 v[8:9], v8 offset0:32 offset1:176
	v_add_co_u32 v6, vcc_lo, v31, v6
	ds_load_2addr_b32 v[14:15], v14 offset0:64 offset1:208
	v_lshlrev_b64_e32 v[17:18], 2, v[20:21]
	v_add_nc_u32_e32 v20, 0x7e0, v16
	s_wait_alu 0xfffd
	v_add_co_ci_u32_e32 v7, vcc_lo, v32, v7, vcc_lo
	v_add_co_u32 v10, vcc_lo, v31, v10
	s_delay_alu instid0(VALU_DEP_3)
	v_lshlrev_b64_e32 v[22:23], 2, v[20:21]
	v_add_nc_u32_e32 v20, 0x870, v16
	ds_load_2addr_b32 v[24:25], v19 offset0:96 offset1:240
	s_wait_alu 0xfffd
	v_add_co_ci_u32_e32 v11, vcc_lo, v32, v11, vcc_lo
	v_add_co_u32 v12, vcc_lo, v31, v12
	v_lshlrev_b64_e32 v[26:27], 2, v[20:21]
	v_add_nc_u32_e32 v20, 0x900, v16
	s_wait_alu 0xfffd
	v_add_co_ci_u32_e32 v13, vcc_lo, v32, v13, vcc_lo
	v_add_co_u32 v17, vcc_lo, v31, v17
	s_wait_alu 0xfffd
	v_add_co_ci_u32_e32 v18, vcc_lo, v32, v18, vcc_lo
	v_add_co_u32 v22, vcc_lo, v31, v22
	v_lshlrev_b64_e32 v[28:29], 2, v[20:21]
	v_add_nc_u32_e32 v20, 0x990, v16
	s_wait_alu 0xfffd
	v_add_co_ci_u32_e32 v23, vcc_lo, v32, v23, vcc_lo
	v_add_co_u32 v26, vcc_lo, v31, v26
	s_wait_alu 0xfffd
	v_add_co_ci_u32_e32 v27, vcc_lo, v32, v27, vcc_lo
	s_wait_dscnt 0x3
	s_clause 0x1
	global_store_b32 v[4:5], v0, off
	global_store_b32 v[2:3], v1, off
	s_wait_dscnt 0x2
	s_clause 0x1
	global_store_b32 v[6:7], v8, off
	global_store_b32 v[10:11], v9, off
	;; [unrolled: 4-line block ×4, first 2 shown]
	v_lshlrev_b64_e32 v[2:3], 2, v[20:21]
	v_add_nc_u32_e32 v20, 0xa20, v16
	v_add_nc_u32_e32 v19, 0x2400, v30
	v_add_co_u32 v4, vcc_lo, v31, v28
	s_wait_alu 0xfffd
	v_add_co_ci_u32_e32 v5, vcc_lo, v32, v29, vcc_lo
	v_lshlrev_b64_e32 v[6:7], 2, v[20:21]
	v_add_nc_u32_e32 v20, 0xab0, v16
	v_add_nc_u32_e32 v8, 0x2800, v30
	v_add_co_u32 v2, vcc_lo, v31, v2
	v_add_nc_u32_e32 v14, 0x2c00, v30
	s_delay_alu instid0(VALU_DEP_4)
	v_lshlrev_b64_e32 v[10:11], 2, v[20:21]
	v_add_nc_u32_e32 v20, 0xb40, v16
	ds_load_2addr_b32 v[0:1], v19 offset1:144
	s_wait_alu 0xfffd
	v_add_co_ci_u32_e32 v3, vcc_lo, v32, v3, vcc_lo
	v_add_co_u32 v6, vcc_lo, v31, v6
	v_lshlrev_b64_e32 v[12:13], 2, v[20:21]
	v_add_nc_u32_e32 v20, 0xbd0, v16
	v_add_nc_u32_e32 v19, 0x3000, v30
	ds_load_2addr_b32 v[8:9], v8 offset0:32 offset1:176
	s_wait_alu 0xfffd
	v_add_co_ci_u32_e32 v7, vcc_lo, v32, v7, vcc_lo
	v_lshlrev_b64_e32 v[17:18], 2, v[20:21]
	v_add_nc_u32_e32 v20, 0xc60, v16
	v_add_co_u32 v10, vcc_lo, v31, v10
	ds_load_2addr_b32 v[14:15], v14 offset0:64 offset1:208
	s_wait_alu 0xfffd
	v_add_co_ci_u32_e32 v11, vcc_lo, v32, v11, vcc_lo
	ds_load_2addr_b32 v[22:23], v19 offset0:96 offset1:240
	v_add_co_u32 v12, vcc_lo, v31, v12
	v_lshlrev_b64_e32 v[24:25], 2, v[20:21]
	v_add_nc_u32_e32 v20, 0xcf0, v16
	s_wait_alu 0xfffd
	v_add_co_ci_u32_e32 v13, vcc_lo, v32, v13, vcc_lo
	v_add_co_u32 v16, vcc_lo, v31, v17
	s_wait_alu 0xfffd
	v_add_co_ci_u32_e32 v17, vcc_lo, v32, v18, vcc_lo
	v_lshlrev_b64_e32 v[18:19], 2, v[20:21]
	v_add_co_u32 v20, vcc_lo, v31, v24
	s_wait_alu 0xfffd
	v_add_co_ci_u32_e32 v21, vcc_lo, v32, v25, vcc_lo
	s_delay_alu instid0(VALU_DEP_3)
	v_add_co_u32 v18, vcc_lo, v31, v18
	s_wait_alu 0xfffd
	v_add_co_ci_u32_e32 v19, vcc_lo, v32, v19, vcc_lo
	s_wait_dscnt 0x3
	s_clause 0x1
	global_store_b32 v[4:5], v0, off
	global_store_b32 v[2:3], v1, off
	s_wait_dscnt 0x2
	s_clause 0x1
	global_store_b32 v[6:7], v8, off
	global_store_b32 v[10:11], v9, off
	;; [unrolled: 4-line block ×4, first 2 shown]
.LBB0_19:
	s_nop 0
	s_sendmsg sendmsg(MSG_DEALLOC_VGPRS)
	s_endpgm
	.section	.rodata,"a",@progbits
	.p2align	6, 0x0
	.amdhsa_kernel fft_rtc_fwd_len3456_factors_6_6_6_4_4_wgs_144_tpt_144_halfLds_half_ip_CI_unitstride_sbrr_C2R_dirReg
		.amdhsa_group_segment_fixed_size 0
		.amdhsa_private_segment_fixed_size 0
		.amdhsa_kernarg_size 88
		.amdhsa_user_sgpr_count 2
		.amdhsa_user_sgpr_dispatch_ptr 0
		.amdhsa_user_sgpr_queue_ptr 0
		.amdhsa_user_sgpr_kernarg_segment_ptr 1
		.amdhsa_user_sgpr_dispatch_id 0
		.amdhsa_user_sgpr_private_segment_size 0
		.amdhsa_wavefront_size32 1
		.amdhsa_uses_dynamic_stack 0
		.amdhsa_enable_private_segment 0
		.amdhsa_system_sgpr_workgroup_id_x 1
		.amdhsa_system_sgpr_workgroup_id_y 0
		.amdhsa_system_sgpr_workgroup_id_z 0
		.amdhsa_system_sgpr_workgroup_info 0
		.amdhsa_system_vgpr_workitem_id 0
		.amdhsa_next_free_vgpr 93
		.amdhsa_next_free_sgpr 32
		.amdhsa_reserve_vcc 1
		.amdhsa_float_round_mode_32 0
		.amdhsa_float_round_mode_16_64 0
		.amdhsa_float_denorm_mode_32 3
		.amdhsa_float_denorm_mode_16_64 3
		.amdhsa_fp16_overflow 0
		.amdhsa_workgroup_processor_mode 1
		.amdhsa_memory_ordered 1
		.amdhsa_forward_progress 0
		.amdhsa_round_robin_scheduling 0
		.amdhsa_exception_fp_ieee_invalid_op 0
		.amdhsa_exception_fp_denorm_src 0
		.amdhsa_exception_fp_ieee_div_zero 0
		.amdhsa_exception_fp_ieee_overflow 0
		.amdhsa_exception_fp_ieee_underflow 0
		.amdhsa_exception_fp_ieee_inexact 0
		.amdhsa_exception_int_div_zero 0
	.end_amdhsa_kernel
	.text
.Lfunc_end0:
	.size	fft_rtc_fwd_len3456_factors_6_6_6_4_4_wgs_144_tpt_144_halfLds_half_ip_CI_unitstride_sbrr_C2R_dirReg, .Lfunc_end0-fft_rtc_fwd_len3456_factors_6_6_6_4_4_wgs_144_tpt_144_halfLds_half_ip_CI_unitstride_sbrr_C2R_dirReg
                                        ; -- End function
	.section	.AMDGPU.csdata,"",@progbits
; Kernel info:
; codeLenInByte = 15828
; NumSgprs: 34
; NumVgprs: 93
; ScratchSize: 0
; MemoryBound: 0
; FloatMode: 240
; IeeeMode: 1
; LDSByteSize: 0 bytes/workgroup (compile time only)
; SGPRBlocks: 4
; VGPRBlocks: 11
; NumSGPRsForWavesPerEU: 34
; NumVGPRsForWavesPerEU: 93
; Occupancy: 15
; WaveLimiterHint : 1
; COMPUTE_PGM_RSRC2:SCRATCH_EN: 0
; COMPUTE_PGM_RSRC2:USER_SGPR: 2
; COMPUTE_PGM_RSRC2:TRAP_HANDLER: 0
; COMPUTE_PGM_RSRC2:TGID_X_EN: 1
; COMPUTE_PGM_RSRC2:TGID_Y_EN: 0
; COMPUTE_PGM_RSRC2:TGID_Z_EN: 0
; COMPUTE_PGM_RSRC2:TIDIG_COMP_CNT: 0
	.text
	.p2alignl 7, 3214868480
	.fill 96, 4, 3214868480
	.type	__hip_cuid_746b83ca3209c8d0,@object ; @__hip_cuid_746b83ca3209c8d0
	.section	.bss,"aw",@nobits
	.globl	__hip_cuid_746b83ca3209c8d0
__hip_cuid_746b83ca3209c8d0:
	.byte	0                               ; 0x0
	.size	__hip_cuid_746b83ca3209c8d0, 1

	.ident	"AMD clang version 19.0.0git (https://github.com/RadeonOpenCompute/llvm-project roc-6.4.0 25133 c7fe45cf4b819c5991fe208aaa96edf142730f1d)"
	.section	".note.GNU-stack","",@progbits
	.addrsig
	.addrsig_sym __hip_cuid_746b83ca3209c8d0
	.amdgpu_metadata
---
amdhsa.kernels:
  - .args:
      - .actual_access:  read_only
        .address_space:  global
        .offset:         0
        .size:           8
        .value_kind:     global_buffer
      - .offset:         8
        .size:           8
        .value_kind:     by_value
      - .actual_access:  read_only
        .address_space:  global
        .offset:         16
        .size:           8
        .value_kind:     global_buffer
      - .actual_access:  read_only
        .address_space:  global
        .offset:         24
        .size:           8
        .value_kind:     global_buffer
      - .offset:         32
        .size:           8
        .value_kind:     by_value
      - .actual_access:  read_only
        .address_space:  global
        .offset:         40
        .size:           8
        .value_kind:     global_buffer
      - .actual_access:  read_only
        .address_space:  global
        .offset:         48
        .size:           8
        .value_kind:     global_buffer
      - .offset:         56
        .size:           4
        .value_kind:     by_value
      - .actual_access:  read_only
        .address_space:  global
        .offset:         64
        .size:           8
        .value_kind:     global_buffer
      - .actual_access:  read_only
        .address_space:  global
        .offset:         72
        .size:           8
        .value_kind:     global_buffer
      - .address_space:  global
        .offset:         80
        .size:           8
        .value_kind:     global_buffer
    .group_segment_fixed_size: 0
    .kernarg_segment_align: 8
    .kernarg_segment_size: 88
    .language:       OpenCL C
    .language_version:
      - 2
      - 0
    .max_flat_workgroup_size: 144
    .name:           fft_rtc_fwd_len3456_factors_6_6_6_4_4_wgs_144_tpt_144_halfLds_half_ip_CI_unitstride_sbrr_C2R_dirReg
    .private_segment_fixed_size: 0
    .sgpr_count:     34
    .sgpr_spill_count: 0
    .symbol:         fft_rtc_fwd_len3456_factors_6_6_6_4_4_wgs_144_tpt_144_halfLds_half_ip_CI_unitstride_sbrr_C2R_dirReg.kd
    .uniform_work_group_size: 1
    .uses_dynamic_stack: false
    .vgpr_count:     93
    .vgpr_spill_count: 0
    .wavefront_size: 32
    .workgroup_processor_mode: 1
amdhsa.target:   amdgcn-amd-amdhsa--gfx1201
amdhsa.version:
  - 1
  - 2
...

	.end_amdgpu_metadata
